;; amdgpu-corpus repo=ROCm/rocFFT kind=compiled arch=gfx1201 opt=O3
	.text
	.amdgcn_target "amdgcn-amd-amdhsa--gfx1201"
	.amdhsa_code_object_version 6
	.protected	bluestein_single_back_len792_dim1_sp_op_CI_CI ; -- Begin function bluestein_single_back_len792_dim1_sp_op_CI_CI
	.globl	bluestein_single_back_len792_dim1_sp_op_CI_CI
	.p2align	8
	.type	bluestein_single_back_len792_dim1_sp_op_CI_CI,@function
bluestein_single_back_len792_dim1_sp_op_CI_CI: ; @bluestein_single_back_len792_dim1_sp_op_CI_CI
; %bb.0:
	s_load_b128 s[8:11], s[0:1], 0x28
	v_mul_u32_u24_e32 v1, 0x2e9, v0
	v_mov_b32_e32 v61, 0
	s_mov_b32 s2, exec_lo
	s_delay_alu instid0(VALU_DEP_2) | instskip(NEXT) | instid1(VALU_DEP_1)
	v_lshrrev_b32_e32 v2, 16, v1
	v_lshl_add_u32 v60, ttmp9, 1, v2
	s_wait_kmcnt 0x0
	s_delay_alu instid0(VALU_DEP_1)
	v_cmpx_gt_u64_e64 s[8:9], v[60:61]
	s_cbranch_execz .LBB0_39
; %bb.1:
	s_clause 0x1
	s_load_b128 s[4:7], s[0:1], 0x18
	s_load_b64 s[16:17], s[0:1], 0x0
	v_mul_lo_u16 v1, 0x58, v2
	s_movk_i32 s2, 0xfecc
	s_mov_b32 s3, -1
	s_delay_alu instid0(VALU_DEP_1) | instskip(NEXT) | instid1(VALU_DEP_1)
	v_sub_nc_u16 v23, v0, v1
	v_and_b32_e32 v85, 0xffff, v23
	s_wait_kmcnt 0x0
	s_load_b128 s[12:15], s[4:5], 0x0
	s_wait_kmcnt 0x0
	v_mad_co_u64_u32 v[0:1], null, s14, v60, 0
	v_mad_co_u64_u32 v[3:4], null, s12, v85, 0
	s_mul_u64 s[4:5], s[12:13], 0x18c
	s_mul_u64 s[2:3], s[12:13], s[2:3]
	s_delay_alu instid0(SALU_CYCLE_1) | instskip(NEXT) | instid1(VALU_DEP_2)
	s_lshl_b64 s[2:3], s[2:3], 3
	v_mad_co_u64_u32 v[5:6], null, s15, v60, v[1:2]
	s_delay_alu instid0(VALU_DEP_1) | instskip(SKIP_1) | instid1(VALU_DEP_1)
	v_mad_co_u64_u32 v[6:7], null, s13, v85, v[4:5]
	v_mov_b32_e32 v1, v5
	v_lshlrev_b64_e32 v[0:1], 3, v[0:1]
	s_delay_alu instid0(VALU_DEP_3)
	v_mov_b32_e32 v4, v6
	v_lshlrev_b32_e32 v88, 3, v85
	s_clause 0x2
	global_load_b64 v[65:66], v88, s[16:17]
	global_load_b64 v[67:68], v88, s[16:17] offset:704
	global_load_b64 v[69:70], v88, s[16:17] offset:1408
	v_lshlrev_b64_e32 v[3:4], 3, v[3:4]
	s_clause 0x2
	global_load_b64 v[73:74], v88, s[16:17] offset:3168
	global_load_b64 v[71:72], v88, s[16:17] offset:3872
	;; [unrolled: 1-line block ×3, first 2 shown]
	v_add_co_u32 v61, s12, s16, v88
	v_add_co_u32 v0, vcc_lo, s10, v0
	v_add_co_ci_u32_e32 v1, vcc_lo, s11, v1, vcc_lo
	s_lshl_b64 s[10:11], s[4:5], 3
	s_delay_alu instid0(VALU_DEP_2) | instskip(SKIP_1) | instid1(VALU_DEP_2)
	v_add_co_u32 v0, vcc_lo, v0, v3
	s_wait_alu 0xfffd
	v_add_co_ci_u32_e32 v1, vcc_lo, v1, v4, vcc_lo
	s_wait_alu 0xf1ff
	v_add_co_ci_u32_e64 v62, null, s17, 0, s12
	s_wait_alu 0xfffe
	v_add_co_u32 v3, vcc_lo, v0, s10
	s_wait_alu 0xfffd
	v_add_co_ci_u32_e32 v4, vcc_lo, s11, v1, vcc_lo
	s_delay_alu instid0(VALU_DEP_2) | instskip(SKIP_1) | instid1(VALU_DEP_2)
	v_add_co_u32 v5, vcc_lo, v3, s2
	s_wait_alu 0xfffd
	v_add_co_ci_u32_e32 v6, vcc_lo, s3, v4, vcc_lo
	global_load_b64 v[3:4], v[3:4], off
	v_add_co_u32 v7, vcc_lo, v5, s10
	s_wait_alu 0xfffd
	v_add_co_ci_u32_e32 v8, vcc_lo, s11, v6, vcc_lo
	s_clause 0x1
	global_load_b64 v[5:6], v[5:6], off
	global_load_b64 v[9:10], v[0:1], off
	v_add_co_u32 v0, vcc_lo, v7, s2
	s_wait_alu 0xfffd
	v_add_co_ci_u32_e32 v1, vcc_lo, s3, v8, vcc_lo
	s_clause 0x1
	global_load_b64 v[7:8], v[7:8], off
	global_load_b64 v[13:14], v[0:1], off
	v_add_co_u32 v11, vcc_lo, v0, s10
	s_wait_alu 0xfffd
	v_add_co_ci_u32_e32 v12, vcc_lo, s11, v1, vcc_lo
	s_delay_alu instid0(VALU_DEP_2) | instskip(SKIP_1) | instid1(VALU_DEP_2)
	v_add_co_u32 v15, vcc_lo, v11, s2
	s_wait_alu 0xfffd
	v_add_co_ci_u32_e32 v16, vcc_lo, s3, v12, vcc_lo
	global_load_b64 v[11:12], v[11:12], off
	v_add_co_u32 v0, vcc_lo, v15, s10
	s_wait_alu 0xfffd
	v_add_co_ci_u32_e32 v1, vcc_lo, s11, v16, vcc_lo
	global_load_b64 v[75:76], v88, s[16:17] offset:2112
	global_load_b64 v[15:16], v[15:16], off
	global_load_b64 v[77:78], v88, s[16:17] offset:5280
	global_load_b64 v[17:18], v[0:1], off
	s_load_b64 s[8:9], s[0:1], 0x38
	s_load_b128 s[4:7], s[6:7], 0x0
	s_wait_loadcnt 0x9
	v_mul_f32_e32 v19, v4, v74
	v_and_b32_e32 v2, 1, v2
	v_mul_f32_e32 v20, v3, v74
	s_delay_alu instid0(VALU_DEP_3) | instskip(NEXT) | instid1(VALU_DEP_3)
	v_fmac_f32_e32 v19, v3, v73
	v_cmp_eq_u32_e32 vcc_lo, 1, v2
	s_delay_alu instid0(VALU_DEP_3)
	v_fma_f32 v20, v4, v73, -v20
	s_wait_loadcnt 0x7
	v_mul_f32_e32 v22, v9, v66
	v_dual_mul_f32 v4, v5, v68 :: v_dual_mul_f32 v21, v10, v66
	s_wait_alu 0xfffd
	v_cndmask_b32_e64 v2, 0, 0x318, vcc_lo
	v_cmp_gt_u16_e32 vcc_lo, 44, v23
	v_mul_f32_e32 v3, v6, v68
	v_fma_f32 v4, v6, v67, -v4
	s_wait_loadcnt 0x6
	v_dual_mul_f32 v6, v7, v72 :: v_dual_lshlrev_b32 v87, 3, v2
	v_fmac_f32_e32 v21, v9, v65
	s_wait_loadcnt 0x5
	v_mul_f32_e32 v9, v14, v70
	v_fmac_f32_e32 v3, v5, v67
	v_mul_f32_e32 v5, v8, v72
	v_add_nc_u32_e32 v86, v87, v88
	v_fma_f32 v22, v10, v65, -v22
	v_mul_f32_e32 v10, v13, v70
	v_fma_f32 v6, v8, v71, -v6
	s_delay_alu instid0(VALU_DEP_4)
	v_dual_fmac_f32 v5, v7, v71 :: v_dual_add_nc_u32 v24, 0xc00, v86
	s_wait_loadcnt 0x4
	v_dual_mul_f32 v7, v12, v64 :: v_dual_add_nc_u32 v2, 0x400, v86
	v_dual_mul_f32 v8, v11, v64 :: v_dual_fmac_f32 v9, v13, v69
	v_fma_f32 v10, v14, v69, -v10
	s_wait_loadcnt 0x2
	v_mul_f32_e32 v14, v15, v76
	ds_store_b64 v86, v[19:20] offset:3168
	s_wait_loadcnt 0x0
	v_mul_f32_e32 v13, v18, v78
	v_mul_f32_e32 v19, v17, v78
	v_fma_f32 v8, v12, v63, -v8
	v_fmac_f32_e32 v7, v11, v63
	v_mul_f32_e32 v11, v16, v76
	v_fma_f32 v12, v16, v75, -v14
	v_fmac_f32_e32 v13, v17, v77
	v_fma_f32 v14, v18, v77, -v19
	s_delay_alu instid0(VALU_DEP_4)
	v_fmac_f32_e32 v11, v15, v75
	ds_store_2addr_b64 v86, v[21:22], v[3:4] offset1:88
	ds_store_2addr_b64 v24, v[5:6], v[7:8] offset0:100 offset1:188
	ds_store_2addr_b64 v2, v[9:10], v[11:12] offset0:48 offset1:136
	ds_store_b64 v86, v[13:14] offset:5280
	s_and_saveexec_b32 s12, vcc_lo
	s_cbranch_execz .LBB0_3
; %bb.2:
	v_add_co_u32 v0, s2, v0, s2
	s_wait_alu 0xf1ff
	v_add_co_ci_u32_e64 v1, s2, s3, v1, s2
	s_delay_alu instid0(VALU_DEP_2) | instskip(SKIP_1) | instid1(VALU_DEP_2)
	v_add_co_u32 v3, s2, v0, s10
	s_wait_alu 0xf1ff
	v_add_co_ci_u32_e64 v4, s2, s11, v1, s2
	global_load_b64 v[0:1], v[0:1], off
	s_clause 0x1
	global_load_b64 v[5:6], v[61:62], off offset:2816
	global_load_b64 v[7:8], v[61:62], off offset:5984
	global_load_b64 v[3:4], v[3:4], off
	s_wait_loadcnt 0x2
	v_mul_f32_e32 v9, v1, v6
	v_mul_f32_e32 v10, v0, v6
	s_wait_loadcnt 0x0
	v_mul_f32_e32 v6, v4, v8
	s_delay_alu instid0(VALU_DEP_3) | instskip(NEXT) | instid1(VALU_DEP_3)
	v_dual_mul_f32 v8, v3, v8 :: v_dual_fmac_f32 v9, v0, v5
	v_fma_f32 v10, v1, v5, -v10
	s_delay_alu instid0(VALU_DEP_3) | instskip(NEXT) | instid1(VALU_DEP_3)
	v_fmac_f32_e32 v6, v3, v7
	v_fma_f32 v7, v4, v7, -v8
	ds_store_b64 v86, v[9:10] offset:2816
	ds_store_b64 v86, v[6:7] offset:5984
.LBB0_3:
	s_wait_alu 0xfffe
	s_or_b32 exec_lo, exec_lo, s12
	v_add_nc_u32_e32 v0, 0x800, v86
	v_add_nc_u32_e32 v1, 0x1000, v86
	global_wb scope:SCOPE_SE
	s_wait_dscnt 0x0
	s_wait_kmcnt 0x0
	s_barrier_signal -1
	s_barrier_wait -1
	global_inv scope:SCOPE_SE
	ds_load_2addr_b64 v[11:14], v86 offset1:88
	ds_load_2addr_b64 v[15:18], v0 offset0:140 offset1:228
	ds_load_2addr_b64 v[3:6], v2 offset0:48 offset1:136
	;; [unrolled: 1-line block ×3, first 2 shown]
                                        ; implicit-def: $vgpr19
                                        ; implicit-def: $vgpr0
	s_and_saveexec_b32 s2, vcc_lo
	s_cbranch_execz .LBB0_5
; %bb.4:
	ds_load_b64 v[0:1], v86 offset:2816
	ds_load_b64 v[19:20], v86 offset:5984
.LBB0_5:
	s_wait_alu 0xfffe
	s_or_b32 exec_lo, exec_lo, s2
	s_load_b64 s[2:3], s[0:1], 0x8
	v_add_co_u32 v21, s0, 0x58, v85
	s_wait_dscnt 0x2
	v_dual_sub_f32 v30, v12, v16 :: v_dual_lshlrev_b32 v23, 1, v85
	s_wait_dscnt 0x0
	v_sub_f32_e32 v33, v3, v7
	s_wait_alu 0xf1ff
	v_add_co_ci_u32_e64 v2, null, 0, 0, s0
	v_add_co_u32 v22, s0, 0xb0, v85
	s_wait_alu 0xf1ff
	v_add_co_ci_u32_e64 v2, null, 0, 0, s0
	v_dual_sub_f32 v29, v11, v15 :: v_dual_sub_f32 v16, v14, v18
	v_add_co_u32 v26, null, 0x160, v85
	v_dual_sub_f32 v15, v13, v17 :: v_dual_sub_f32 v34, v4, v8
	v_dual_sub_f32 v7, v5, v9 :: v_dual_sub_f32 v2, v0, v19
	v_sub_f32_e32 v8, v6, v10
	v_fma_f32 v31, v3, 2.0, -v33
	v_dual_sub_f32 v3, v1, v20 :: v_dual_add_nc_u32 v20, 0x210, v23
	v_fma_f32 v27, v11, 2.0, -v29
	v_fma_f32 v28, v12, 2.0, -v30
	;; [unrolled: 1-line block ×3, first 2 shown]
	s_delay_alu instid0(VALU_DEP_4)
	v_fma_f32 v1, v1, 2.0, -v3
	v_lshl_add_u32 v92, v85, 4, v87
	v_lshlrev_b32_e32 v25, 1, v21
	v_lshl_add_u32 v96, v21, 4, v87
	v_lshlrev_b32_e32 v24, 1, v22
	v_lshl_add_u32 v95, v22, 4, v87
	v_lshl_add_u32 v94, v20, 3, v87
	;; [unrolled: 1-line block ×3, first 2 shown]
	v_fma_f32 v13, v13, 2.0, -v15
	v_fma_f32 v14, v14, 2.0, -v16
	;; [unrolled: 1-line block ×5, first 2 shown]
	global_wb scope:SCOPE_SE
	s_wait_kmcnt 0x0
	s_barrier_signal -1
	s_barrier_wait -1
	global_inv scope:SCOPE_SE
	ds_store_b128 v92, v[27:30]
	ds_store_b128 v96, v[13:16]
	;; [unrolled: 1-line block ×4, first 2 shown]
	s_and_saveexec_b32 s0, vcc_lo
	s_cbranch_execz .LBB0_7
; %bb.6:
	ds_store_b128 v93, v[0:3]
.LBB0_7:
	s_wait_alu 0xfffe
	s_or_b32 exec_lo, exec_lo, s0
	v_add_nc_u32_e32 v4, 0x800, v86
	v_add_nc_u32_e32 v5, 0x400, v86
	;; [unrolled: 1-line block ×3, first 2 shown]
	global_wb scope:SCOPE_SE
	s_wait_dscnt 0x0
	s_barrier_signal -1
	s_barrier_wait -1
	global_inv scope:SCOPE_SE
	ds_load_2addr_b64 v[8:11], v86 offset1:88
	ds_load_2addr_b64 v[16:19], v4 offset0:140 offset1:228
	ds_load_2addr_b64 v[4:7], v5 offset0:48 offset1:136
	;; [unrolled: 1-line block ×3, first 2 shown]
	s_and_saveexec_b32 s0, vcc_lo
	s_cbranch_execz .LBB0_9
; %bb.8:
	ds_load_b64 v[0:1], v86 offset:2816
	ds_load_b64 v[2:3], v86 offset:5984
.LBB0_9:
	s_wait_alu 0xfffe
	s_or_b32 exec_lo, exec_lo, s0
	v_and_b32_e32 v90, 1, v85
	s_delay_alu instid0(VALU_DEP_1)
	v_lshlrev_b32_e32 v27, 3, v90
	global_load_b64 v[79:80], v27, s[2:3]
	v_and_or_b32 v27, 0x1fc, v25, v90
	v_lshlrev_b32_e32 v89, 1, v26
	global_wb scope:SCOPE_SE
	s_wait_loadcnt_dscnt 0x0
	s_barrier_signal -1
	s_barrier_wait -1
	v_lshl_add_u32 v99, v27, 3, v87
	global_inv scope:SCOPE_SE
	v_mul_f32_e32 v27, v16, v80
	v_and_or_b32 v28, 0x3fc, v24, v90
	v_and_or_b32 v26, 0xfc, v23, v90
	;; [unrolled: 1-line block ×3, first 2 shown]
	s_delay_alu instid0(VALU_DEP_4) | instskip(NEXT) | instid1(VALU_DEP_4)
	v_dual_mul_f32 v32, v15, v80 :: v_dual_fmac_f32 v27, v17, v79
	v_lshl_add_u32 v98, v28, 3, v87
	v_mul_f32_e32 v28, v19, v80
	v_lshl_add_u32 v100, v26, 3, v87
	v_lshl_add_u32 v97, v29, 3, v87
	v_mul_f32_e32 v26, v17, v80
	v_mul_f32_e32 v29, v18, v80
	;; [unrolled: 1-line block ×3, first 2 shown]
	v_fma_f32 v17, v18, v79, -v28
	v_mul_f32_e32 v31, v12, v80
	v_mul_f32_e32 v35, v2, v80
	v_fmac_f32_e32 v29, v19, v79
	v_fma_f32 v18, v12, v79, -v30
	v_sub_f32_e32 v12, v10, v17
	v_dual_mul_f32 v34, v3, v80 :: v_dual_fmac_f32 v31, v13, v79
	v_mul_f32_e32 v33, v14, v80
	v_fma_f32 v16, v16, v79, -v26
	v_fma_f32 v19, v14, v79, -v32
	s_delay_alu instid0(VALU_DEP_4) | instskip(SKIP_1) | instid1(VALU_DEP_4)
	v_fma_f32 v28, v2, v79, -v34
	v_fmac_f32_e32 v35, v3, v79
	v_dual_fmac_f32 v33, v15, v79 :: v_dual_sub_f32 v2, v8, v16
	v_sub_f32_e32 v3, v9, v27
	v_dual_sub_f32 v13, v11, v29 :: v_dual_sub_f32 v26, v6, v19
	v_sub_f32_e32 v14, v4, v18
	v_dual_sub_f32 v18, v0, v28 :: v_dual_sub_f32 v19, v1, v35
	v_sub_f32_e32 v15, v5, v31
	v_sub_f32_e32 v27, v7, v33
	v_fma_f32 v8, v8, 2.0, -v2
	v_fma_f32 v9, v9, 2.0, -v3
	;; [unrolled: 1-line block ×10, first 2 shown]
	ds_store_2addr_b64 v100, v[8:9], v[2:3] offset1:2
	ds_store_2addr_b64 v99, v[10:11], v[12:13] offset1:2
	;; [unrolled: 1-line block ×4, first 2 shown]
	s_and_saveexec_b32 s0, vcc_lo
	s_cbranch_execz .LBB0_11
; %bb.10:
	v_and_or_b32 v0, 0x3fc, v89, v90
	s_delay_alu instid0(VALU_DEP_1)
	v_lshl_add_u32 v0, v0, 3, v87
	ds_store_2addr_b64 v0, v[16:17], v[18:19] offset1:2
.LBB0_11:
	s_wait_alu 0xfffe
	s_or_b32 exec_lo, exec_lo, s0
	v_add_nc_u32_e32 v0, 0x800, v86
	v_add_nc_u32_e32 v1, 0x400, v86
	v_add_nc_u32_e32 v8, 0x1000, v86
	global_wb scope:SCOPE_SE
	s_wait_dscnt 0x0
	s_barrier_signal -1
	s_barrier_wait -1
	global_inv scope:SCOPE_SE
	ds_load_2addr_b64 v[4:7], v86 offset1:88
	ds_load_2addr_b64 v[12:15], v0 offset0:140 offset1:228
	ds_load_2addr_b64 v[0:3], v1 offset0:48 offset1:136
	;; [unrolled: 1-line block ×3, first 2 shown]
	s_and_saveexec_b32 s0, vcc_lo
	s_cbranch_execz .LBB0_13
; %bb.12:
	ds_load_b64 v[16:17], v86 offset:2816
	ds_load_b64 v[18:19], v86 offset:5984
.LBB0_13:
	s_wait_alu 0xfffe
	s_or_b32 exec_lo, exec_lo, s0
	v_and_b32_e32 v91, 3, v85
	s_delay_alu instid0(VALU_DEP_1)
	v_lshlrev_b32_e32 v26, 3, v91
	v_and_or_b32 v20, 0x3f8, v20, v91
	global_load_b64 v[81:82], v26, s[2:3] offset:16
	v_lshl_add_u32 v101, v20, 3, v87
	global_wb scope:SCOPE_SE
	s_wait_loadcnt_dscnt 0x0
	s_barrier_signal -1
	s_barrier_wait -1
	global_inv scope:SCOPE_SE
	v_mul_f32_e32 v20, v13, v82
	v_and_or_b32 v23, 0xf8, v23, v91
	v_and_or_b32 v24, 0x3f8, v24, v91
	;; [unrolled: 1-line block ×3, first 2 shown]
	v_mul_f32_e32 v29, v10, v82
	v_mul_f32_e32 v31, v18, v82
	v_lshl_add_u32 v104, v23, 3, v87
	v_mul_f32_e32 v23, v12, v82
	v_lshl_add_u32 v102, v24, 3, v87
	;; [unrolled: 2-line block ×3, first 2 shown]
	v_fma_f32 v12, v12, v81, -v20
	v_fmac_f32_e32 v23, v13, v81
	v_mul_f32_e32 v25, v14, v82
	v_mul_f32_e32 v26, v9, v82
	v_fma_f32 v13, v14, v81, -v24
	v_mul_f32_e32 v27, v8, v82
	v_mul_f32_e32 v28, v11, v82
	;; [unrolled: 1-line block ×3, first 2 shown]
	v_fma_f32 v14, v8, v81, -v26
	v_dual_sub_f32 v8, v4, v12 :: v_dual_fmac_f32 v25, v15, v81
	s_delay_alu instid0(VALU_DEP_4)
	v_fma_f32 v15, v10, v81, -v28
	v_sub_f32_e32 v10, v6, v13
	v_fmac_f32_e32 v27, v9, v81
	v_sub_f32_e32 v9, v5, v23
	v_dual_fmac_f32 v29, v11, v81 :: v_dual_sub_f32 v12, v0, v14
	v_fma_f32 v18, v18, v81, -v30
	v_dual_fmac_f32 v31, v19, v81 :: v_dual_sub_f32 v14, v2, v15
	v_sub_f32_e32 v11, v7, v25
	s_delay_alu instid0(VALU_DEP_3)
	v_dual_sub_f32 v13, v1, v27 :: v_dual_sub_f32 v42, v16, v18
	v_sub_f32_e32 v15, v3, v29
	v_fma_f32 v4, v4, 2.0, -v8
	v_fma_f32 v5, v5, 2.0, -v9
	v_sub_f32_e32 v43, v17, v31
	v_fma_f32 v6, v6, 2.0, -v10
	v_fma_f32 v7, v7, 2.0, -v11
	;; [unrolled: 1-line block ×6, first 2 shown]
	ds_store_2addr_b64 v104, v[4:5], v[8:9] offset1:4
	ds_store_2addr_b64 v103, v[6:7], v[10:11] offset1:4
	;; [unrolled: 1-line block ×4, first 2 shown]
	s_and_saveexec_b32 s0, vcc_lo
	s_cbranch_execz .LBB0_15
; %bb.14:
	v_and_or_b32 v2, 0x3f8, v89, v91
	v_fma_f32 v1, v17, 2.0, -v43
	v_fma_f32 v0, v16, 2.0, -v42
	s_delay_alu instid0(VALU_DEP_3)
	v_lshl_add_u32 v2, v2, 3, v87
	ds_store_2addr_b64 v2, v[0:1], v[42:43] offset1:4
.LBB0_15:
	s_wait_alu 0xfffe
	s_or_b32 exec_lo, exec_lo, s0
	v_and_b32_e32 v20, 7, v85
	global_wb scope:SCOPE_SE
	s_wait_dscnt 0x0
	s_barrier_signal -1
	s_barrier_wait -1
	global_inv scope:SCOPE_SE
	v_lshlrev_b32_e32 v0, 4, v20
	ds_load_2addr_b64 v[6:9], v86 offset1:88
	ds_load_b64 v[18:19], v86 offset:5632
	v_lshrrev_b32_e32 v29, 3, v21
	v_lshrrev_b32_e32 v30, 3, v22
	global_load_b128 v[0:3], v0, s[2:3] offset:48
	v_add_nc_u32_e32 v28, 0x400, v86
	v_add_nc_u32_e32 v5, 0x1000, v86
	v_add_nc_u32_e32 v4, 0x800, v86
	v_and_b32_e32 v32, 0xff, v21
	ds_load_2addr_b64 v[10:13], v28 offset0:48 offset1:136
	ds_load_2addr_b64 v[14:17], v5 offset0:16 offset1:104
	;; [unrolled: 1-line block ×3, first 2 shown]
	v_and_b32_e32 v33, 0xffff, v22
	v_and_b32_e32 v31, 0xff, v85
	v_lshrrev_b32_e32 v27, 3, v85
	v_mul_u32_u24_e32 v29, 24, v29
	v_mul_u32_u24_e32 v30, 24, v30
	global_wb scope:SCOPE_SE
	s_wait_loadcnt_dscnt 0x0
	s_barrier_signal -1
	v_mul_u32_u24_e32 v27, 24, v27
	s_barrier_wait -1
	global_inv scope:SCOPE_SE
	v_mul_f32_e32 v38, v24, v1
	v_mul_u32_u24_e32 v33, 0xaaab, v33
	v_mul_f32_e32 v47, v18, v3
	v_mul_lo_u16 v32, 0xab, v32
	v_mul_f32_e32 v37, v14, v3
	v_or_b32_e32 v27, v27, v20
	v_lshrrev_b32_e32 v33, 20, v33
	v_or_b32_e32 v29, v29, v20
	v_lshrrev_b16 v32, 12, v32
	v_or_b32_e32 v20, v30, v20
	v_lshl_add_u32 v107, v27, 3, v87
	v_mul_lo_u16 v36, v33, 24
	v_mul_f32_e32 v39, v23, v1
	v_mul_lo_u16 v35, v32, 24
	v_lshl_add_u32 v105, v20, 3, v87
	v_dual_mul_f32 v20, v13, v1 :: v_dual_mul_f32 v41, v16, v3
	v_lshl_add_u32 v106, v29, 3, v87
	s_delay_alu instid0(VALU_DEP_4)
	v_sub_nc_u16 v21, v21, v35
	v_sub_nc_u16 v35, v22, v36
	v_mul_f32_e32 v22, v15, v3
	v_mul_lo_u16 v31, 0xab, v31
	v_dual_mul_f32 v46, v19, v3 :: v_dual_fmac_f32 v39, v24, v0
	v_fmac_f32_e32 v47, v19, v2
	v_mul_f32_e32 v45, v25, v1
	s_delay_alu instid0(VALU_DEP_4) | instskip(SKIP_2) | instid1(VALU_DEP_3)
	v_lshrrev_b16 v31, 12, v31
	v_dual_mul_f32 v40, v17, v3 :: v_dual_fmac_f32 v37, v15, v2
	v_mul_f32_e32 v44, v26, v1
	v_mul_lo_u16 v34, v31, 24
	s_delay_alu instid0(VALU_DEP_3) | instskip(NEXT) | instid1(VALU_DEP_3)
	v_fma_f32 v15, v16, v2, -v40
	v_fma_f32 v16, v25, v0, -v44
	s_delay_alu instid0(VALU_DEP_3) | instskip(NEXT) | instid1(VALU_DEP_2)
	v_sub_nc_u16 v34, v85, v34
	v_add_f32_e32 v44, v10, v16
	s_delay_alu instid0(VALU_DEP_2) | instskip(SKIP_2) | instid1(VALU_DEP_3)
	v_and_b32_e32 v30, 0xff, v34
	v_and_b32_e32 v34, 0xff, v21
	v_lshlrev_b16 v21, 4, v35
	v_lshlrev_b32_e32 v27, 4, v30
	s_delay_alu instid0(VALU_DEP_2) | instskip(SKIP_4) | instid1(VALU_DEP_4)
	v_and_b32_e32 v36, 0xffff, v21
	v_mul_f32_e32 v21, v12, v1
	v_fma_f32 v12, v12, v0, -v20
	v_fmac_f32_e32 v41, v17, v2
	v_fma_f32 v17, v18, v2, -v46
	v_fmac_f32_e32 v21, v13, v0
	s_delay_alu instid0(VALU_DEP_4) | instskip(SKIP_2) | instid1(VALU_DEP_4)
	v_dual_add_f32 v18, v6, v12 :: v_dual_lshlrev_b32 v29, 4, v34
	v_fma_f32 v13, v14, v2, -v22
	v_fma_f32 v14, v23, v0, -v38
	v_dual_fmac_f32 v45, v26, v0 :: v_dual_sub_f32 v20, v21, v37
	v_add_f32_e32 v22, v7, v21
	s_delay_alu instid0(VALU_DEP_3)
	v_dual_add_f32 v19, v12, v13 :: v_dual_sub_f32 v40, v14, v15
	v_dual_add_f32 v21, v21, v37 :: v_dual_add_f32 v24, v8, v14
	v_add_f32_e32 v25, v14, v15
	v_add_f32_e32 v38, v9, v39
	v_sub_f32_e32 v26, v39, v41
	v_dual_add_f32 v39, v39, v41 :: v_dual_sub_f32 v48, v45, v47
	v_add_f32_e32 v46, v16, v17
	v_dual_add_f32 v49, v11, v45 :: v_dual_add_f32 v14, v24, v15
	v_add_f32_e32 v45, v45, v47
	v_sub_f32_e32 v23, v12, v13
	v_fma_f32 v6, -0.5, v19, v6
	v_fma_f32 v7, -0.5, v21, v7
	;; [unrolled: 1-line block ×3, first 2 shown]
	v_dual_fmac_f32 v9, -0.5, v39 :: v_dual_sub_f32 v50, v16, v17
	v_fma_f32 v10, -0.5, v46, v10
	v_fmac_f32_e32 v11, -0.5, v45
	v_dual_add_f32 v12, v18, v13 :: v_dual_fmamk_f32 v19, v23, 0xbf5db3d7, v7
	v_dual_add_f32 v13, v22, v37 :: v_dual_fmamk_f32 v18, v20, 0x3f5db3d7, v6
	v_dual_add_f32 v15, v38, v41 :: v_dual_fmac_f32 v6, 0xbf5db3d7, v20
	v_dual_add_f32 v16, v44, v17 :: v_dual_fmac_f32 v7, 0x3f5db3d7, v23
	v_fmamk_f32 v20, v26, 0x3f5db3d7, v8
	v_dual_fmac_f32 v8, 0xbf5db3d7, v26 :: v_dual_fmamk_f32 v21, v40, 0xbf5db3d7, v9
	v_dual_fmac_f32 v9, 0x3f5db3d7, v40 :: v_dual_fmamk_f32 v22, v48, 0x3f5db3d7, v10
	v_dual_add_f32 v17, v49, v47 :: v_dual_fmac_f32 v10, 0xbf5db3d7, v48
	v_fmamk_f32 v23, v50, 0xbf5db3d7, v11
	v_fmac_f32_e32 v11, 0x3f5db3d7, v50
	ds_store_2addr_b64 v107, v[12:13], v[18:19] offset1:8
	ds_store_b64 v107, v[6:7] offset:128
	ds_store_2addr_b64 v106, v[14:15], v[20:21] offset1:8
	ds_store_b64 v106, v[8:9] offset:128
	;; [unrolled: 2-line block ×3, first 2 shown]
	v_add_co_u32 v6, s0, s2, v36
	s_wait_alu 0xf1ff
	v_add_co_ci_u32_e64 v7, null, s3, 0, s0
	global_wb scope:SCOPE_SE
	s_wait_dscnt 0x0
	s_barrier_signal -1
	s_barrier_wait -1
	global_inv scope:SCOPE_SE
	s_clause 0x2
	global_load_b128 v[24:27], v27, s[2:3] offset:176
	global_load_b128 v[12:15], v29, s[2:3] offset:176
	global_load_b128 v[8:11], v[6:7], off offset:176
	ds_load_2addr_b64 v[44:47], v28 offset0:48 offset1:136
	v_and_b32_e32 v6, 0xffff, v31
	ds_load_2addr_b64 v[16:19], v5 offset0:16 offset1:104
	v_and_b32_e32 v7, 0xffff, v32
	ds_load_2addr_b64 v[20:23], v4 offset0:96 offset1:184
	v_mad_u16 v28, 0x48, v33, v35
	v_mul_u32_u24_e32 v6, 0x48, v6
	ds_load_2addr_b64 v[48:51], v86 offset1:88
	v_mul_u32_u24_e32 v7, 0x48, v7
	v_cmp_gt_u16_e64 s0, 0x48, v85
	v_and_b32_e32 v28, 0xffff, v28
	v_add_nc_u32_e32 v29, v6, v30
	s_delay_alu instid0(VALU_DEP_4)
	v_add_nc_u32_e32 v30, v7, v34
	ds_load_b64 v[6:7], v86 offset:5632
	global_wb scope:SCOPE_SE
	s_wait_loadcnt_dscnt 0x0
	s_barrier_signal -1
	s_barrier_wait -1
	global_inv scope:SCOPE_SE
	v_dual_mul_f32 v31, v16, v27 :: v_dual_mul_f32 v32, v21, v13
	v_dual_mul_f32 v34, v19, v15 :: v_dual_mul_f32 v37, v22, v9
	v_lshl_add_u32 v110, v29, 3, v87
	v_lshl_add_u32 v109, v30, 3, v87
	v_dual_mul_f32 v29, v46, v25 :: v_dual_mul_f32 v30, v17, v27
	v_mul_f32_e32 v33, v20, v13
	v_lshl_add_u32 v108, v28, 3, v87
	v_dual_mul_f32 v28, v47, v25 :: v_dual_mul_f32 v35, v18, v15
	v_mul_f32_e32 v36, v23, v9
	v_dual_mul_f32 v38, v7, v11 :: v_dual_fmac_f32 v31, v17, v26
	v_fma_f32 v17, v20, v12, -v32
	v_fma_f32 v18, v18, v14, -v34
	;; [unrolled: 1-line block ×3, first 2 shown]
	v_fmac_f32_e32 v29, v47, v24
	v_fma_f32 v16, v16, v26, -v30
	s_delay_alu instid0(VALU_DEP_4)
	v_dual_mul_f32 v39, v6, v11 :: v_dual_add_f32 v30, v17, v18
	v_fmac_f32_e32 v35, v19, v14
	v_fma_f32 v19, v22, v8, -v36
	v_add_f32_e32 v22, v49, v29
	v_fmac_f32_e32 v33, v21, v12
	v_fma_f32 v6, v6, v10, -v38
	v_add_f32_e32 v20, v28, v16
	v_dual_add_f32 v38, v44, v19 :: v_dual_fmac_f32 v37, v23, v8
	s_delay_alu instid0(VALU_DEP_4) | instskip(SKIP_2) | instid1(VALU_DEP_2)
	v_dual_sub_f32 v32, v33, v35 :: v_dual_fmac_f32 v39, v7, v10
	v_dual_add_f32 v7, v48, v28 :: v_dual_add_f32 v34, v51, v33
	v_dual_sub_f32 v21, v29, v31 :: v_dual_add_f32 v40, v19, v6
	v_dual_add_f32 v23, v29, v31 :: v_dual_add_f32 v36, v7, v16
	v_dual_sub_f32 v28, v28, v16 :: v_dual_add_f32 v33, v33, v35
	v_add_f32_e32 v56, v38, v6
	v_fma_f32 v52, -0.5, v20, v48
	v_add_f32_e32 v29, v50, v17
	v_fma_f32 v50, -0.5, v30, v50
	v_add_f32_e32 v47, v37, v39
	v_sub_f32_e32 v17, v17, v18
	v_sub_f32_e32 v41, v37, v39
	v_dual_add_f32 v46, v45, v37 :: v_dual_sub_f32 v19, v19, v6
	v_fma_f32 v53, -0.5, v23, v49
	v_fmac_f32_e32 v51, -0.5, v33
	v_fma_f32 v44, -0.5, v40, v44
	v_fmamk_f32 v48, v32, 0x3f5db3d7, v50
	v_dual_fmac_f32 v50, 0xbf5db3d7, v32 :: v_dual_fmac_f32 v45, -0.5, v47
	s_delay_alu instid0(VALU_DEP_3)
	v_dual_add_f32 v55, v34, v35 :: v_dual_fmamk_f32 v58, v41, 0x3f5db3d7, v44
	v_dual_add_f32 v57, v46, v39 :: v_dual_fmac_f32 v44, 0xbf5db3d7, v41
	v_dual_fmamk_f32 v38, v21, 0x3f5db3d7, v52 :: v_dual_add_f32 v37, v22, v31
	v_add_f32_e32 v54, v29, v18
	v_dual_fmac_f32 v52, 0xbf5db3d7, v21 :: v_dual_fmamk_f32 v39, v28, 0xbf5db3d7, v53
	v_fmac_f32_e32 v53, 0x3f5db3d7, v28
	v_fmamk_f32 v49, v17, 0xbf5db3d7, v51
	v_fmac_f32_e32 v51, 0x3f5db3d7, v17
	v_fmamk_f32 v59, v19, 0xbf5db3d7, v45
	v_fmac_f32_e32 v45, 0x3f5db3d7, v19
	ds_store_2addr_b64 v110, v[36:37], v[38:39] offset1:24
	ds_store_b64 v110, v[52:53] offset:384
	ds_store_2addr_b64 v109, v[54:55], v[48:49] offset1:24
	ds_store_b64 v109, v[50:51] offset:384
	;; [unrolled: 2-line block ×3, first 2 shown]
	global_wb scope:SCOPE_SE
	s_wait_dscnt 0x0
	s_barrier_signal -1
	s_barrier_wait -1
	global_inv scope:SCOPE_SE
                                        ; implicit-def: $vgpr46
	s_and_saveexec_b32 s1, s0
	s_cbranch_execz .LBB0_17
; %bb.16:
	ds_load_2addr_b64 v[40:43], v5 offset0:64 offset1:136
	ds_load_2addr_b64 v[36:39], v86 offset1:72
	ds_load_2addr_b64 v[52:55], v86 offset0:144 offset1:216
	ds_load_2addr_b64 v[48:51], v4 offset0:32 offset1:104
	;; [unrolled: 1-line block ×3, first 2 shown]
	ds_load_b64 v[46:47], v86 offset:5760
	s_wait_dscnt 0x5
	v_dual_mov_b32 v44, v40 :: v_dual_mov_b32 v45, v41
.LBB0_17:
	s_wait_alu 0xfffe
	s_or_b32 exec_lo, exec_lo, s1
	v_add_nc_u32_e32 v4, 0xffffffb8, v85
	s_delay_alu instid0(VALU_DEP_1) | instskip(NEXT) | instid1(VALU_DEP_1)
	v_cndmask_b32_e64 v4, v4, v85, s0
	v_mul_i32_i24_e32 v5, 0x50, v4
	v_mul_hi_i32_i24_e32 v4, 0x50, v4
	s_delay_alu instid0(VALU_DEP_2) | instskip(SKIP_1) | instid1(VALU_DEP_2)
	v_add_co_u32 v32, s1, s2, v5
	s_wait_alu 0xf1ff
	v_add_co_ci_u32_e64 v33, s1, s3, v4, s1
	s_clause 0x4
	global_load_b128 v[28:31], v[32:33], off offset:560
	global_load_b128 v[16:19], v[32:33], off offset:576
	;; [unrolled: 1-line block ×5, first 2 shown]
	s_wait_loadcnt_dscnt 0x403
	v_mul_f32_e32 v117, v52, v31
	v_dual_mul_f32 v83, v39, v29 :: v_dual_mul_f32 v84, v53, v31
	s_wait_loadcnt_dscnt 0x302
	v_dual_mul_f32 v118, v38, v29 :: v_dual_mul_f32 v115, v48, v19
	v_dual_mul_f32 v121, v55, v17 :: v_dual_mul_f32 v122, v49, v19
	s_wait_loadcnt_dscnt 0x101
	v_dual_mul_f32 v125, v59, v21 :: v_dual_mul_f32 v126, v45, v23
	s_wait_loadcnt_dscnt 0x0
	v_dual_mul_f32 v127, v43, v33 :: v_dual_mul_f32 v40, v46, v35
	v_dual_mul_f32 v41, v42, v33 :: v_dual_mul_f32 v128, v47, v35
	;; [unrolled: 1-line block ×4, first 2 shown]
	v_dual_mul_f32 v112, v58, v21 :: v_dual_fmac_f32 v117, v53, v30
	v_fma_f32 v120, v38, v28, -v83
	v_dual_fmac_f32 v118, v39, v28 :: v_dual_fmac_f32 v115, v49, v18
	v_fma_f32 v53, v54, v16, -v121
	v_fma_f32 v44, v44, v22, -v126
	v_fma_f32 v38, v46, v34, -v128
	v_fmac_f32_e32 v40, v47, v34
	v_dual_fmac_f32 v116, v55, v16 :: v_dual_fmac_f32 v113, v57, v6
	v_dual_fmac_f32 v114, v51, v4 :: v_dual_fmac_f32 v111, v45, v22
	s_delay_alu instid0(VALU_DEP_4)
	v_dual_fmac_f32 v41, v43, v32 :: v_dual_sub_f32 v140, v120, v38
	v_add_f32_e32 v47, v53, v44
	v_add_f32_e32 v43, v118, v40
	v_dual_mul_f32 v123, v51, v5 :: v_dual_mul_f32 v124, v57, v7
	v_fma_f32 v119, v52, v30, -v84
	v_fma_f32 v52, v48, v18, -v122
	;; [unrolled: 1-line block ×3, first 2 shown]
	v_dual_add_f32 v122, v114, v113 :: v_dual_mul_f32 v131, 0xbf0a6770, v140
	v_fma_f32 v50, v50, v4, -v123
	v_fma_f32 v49, v56, v6, -v124
	;; [unrolled: 1-line block ×3, first 2 shown]
	v_dual_fmac_f32 v112, v59, v20 :: v_dual_add_f32 v51, v116, v111
	v_add_f32_e32 v42, v120, v38
	v_dual_sub_f32 v134, v118, v40 :: v_dual_add_f32 v45, v119, v39
	v_dual_sub_f32 v148, v119, v39 :: v_dual_add_f32 v121, v50, v49
	s_delay_alu instid0(VALU_DEP_4)
	v_dual_sub_f32 v136, v117, v41 :: v_dual_add_f32 v55, v115, v112
	v_fma_f32 v57, 0x3f575c64, v43, -v131
	v_mul_f32_e32 v146, 0xbf68dda4, v140
	v_dual_add_f32 v46, v117, v41 :: v_dual_sub_f32 v143, v116, v111
	v_dual_sub_f32 v156, v52, v48 :: v_dual_mul_f32 v137, 0xbf68dda4, v134
	v_dual_sub_f32 v162, v50, v49 :: v_dual_mul_f32 v147, 0xbf4178ce, v148
	s_delay_alu instid0(VALU_DEP_3)
	v_dual_mul_f32 v160, 0xbf7d64f0, v140 :: v_dual_mul_f32 v125, 0xbf7d64f0, v143
	v_add_f32_e32 v57, v37, v57
	v_fma_f32 v59, 0x3ed4b147, v43, -v146
	v_mul_f32_e32 v124, 0xbf68dda4, v136
	v_dual_sub_f32 v150, v53, v44 :: v_dual_sub_f32 v157, v114, v113
	v_dual_add_f32 v54, v52, v48 :: v_dual_mul_f32 v129, 0xbf0a6770, v134
	v_fma_f32 v84, 0xbe11bafb, v43, -v160
	v_fma_f32 v166, 0xbf27a4f4, v46, -v147
	v_dual_add_f32 v59, v37, v59 :: v_dual_fmamk_f32 v58, v42, 0x3ed4b147, v137
	v_fmamk_f32 v163, v45, 0x3ed4b147, v124
	v_mul_f32_e32 v161, 0x3e903f40, v148
	v_dual_sub_f32 v152, v115, v112 :: v_dual_mul_f32 v153, 0xbf7d64f0, v134
	v_dual_mul_f32 v138, 0xbf4178ce, v136 :: v_dual_mul_f32 v149, 0xbf4178ce, v157
	v_dual_mul_f32 v151, 0x3f68dda4, v143 :: v_dual_mul_f32 v158, 0x3f68dda4, v150
	v_dual_mul_f32 v128, 0xbf4178ce, v156 :: v_dual_add_f32 v59, v166, v59
	v_dual_mul_f32 v123, 0xbe903f40, v157 :: v_dual_add_f32 v84, v37, v84
	v_fmamk_f32 v56, v42, 0x3f575c64, v129
	v_add_f32_e32 v58, v36, v58
	v_fma_f32 v168, 0xbf75a155, v46, -v161
	v_dual_mul_f32 v154, 0x3e903f40, v136 :: v_dual_mul_f32 v139, 0x3e903f40, v143
	s_delay_alu instid0(VALU_DEP_4) | instskip(NEXT) | instid1(VALU_DEP_3)
	v_dual_mul_f32 v141, 0x3e903f40, v150 :: v_dual_add_f32 v56, v36, v56
	v_dual_fmamk_f32 v83, v42, 0xbe11bafb, v153 :: v_dual_add_f32 v84, v168, v84
	v_fma_f32 v174, 0x3ed4b147, v51, -v158
	v_fmamk_f32 v165, v45, 0xbf27a4f4, v138
	s_delay_alu instid0(VALU_DEP_4) | instskip(NEXT) | instid1(VALU_DEP_3)
	v_dual_mul_f32 v127, 0xbe903f40, v162 :: v_dual_add_f32 v56, v163, v56
	v_dual_fmamk_f32 v171, v47, 0xbf75a155, v139 :: v_dual_add_f32 v84, v174, v84
	s_delay_alu instid0(VALU_DEP_3) | instskip(SKIP_2) | instid1(VALU_DEP_3)
	v_dual_mul_f32 v135, 0x3f7d64f0, v152 :: v_dual_add_f32 v58, v165, v58
	v_dual_mul_f32 v132, 0xbf68dda4, v148 :: v_dual_add_f32 v83, v36, v83
	v_mul_f32_e32 v145, 0xbf0a6770, v152
	v_dual_fmamk_f32 v185, v121, 0xbf27a4f4, v149 :: v_dual_add_f32 v58, v171, v58
	s_delay_alu instid0(VALU_DEP_4)
	v_fmamk_f32 v177, v54, 0xbe11bafb, v135
	v_mul_f32_e32 v155, 0xbf0a6770, v156
	v_dual_mul_f32 v126, 0xbf4178ce, v152 :: v_dual_mul_f32 v159, 0xbf4178ce, v162
	v_dual_mul_f32 v133, 0x3f0a6770, v157 :: v_dual_mul_f32 v144, 0x3f0a6770, v162
	v_fma_f32 v164, 0x3ed4b147, v46, -v132
	v_add_f32_e32 v58, v177, v58
	v_fma_f32 v180, 0x3f575c64, v55, -v155
	v_fmamk_f32 v169, v47, 0xbe11bafb, v125
	s_delay_alu instid0(VALU_DEP_4) | instskip(SKIP_1) | instid1(VALU_DEP_4)
	v_dual_mul_f32 v130, 0xbf7d64f0, v150 :: v_dual_add_f32 v57, v164, v57
	v_fma_f32 v184, 0x3f575c64, v122, -v144
	v_dual_fmamk_f32 v175, v54, 0xbf27a4f4, v126 :: v_dual_add_f32 v164, v180, v84
	s_delay_alu instid0(VALU_DEP_4) | instskip(SKIP_3) | instid1(VALU_DEP_4)
	v_add_f32_e32 v56, v169, v56
	v_fmamk_f32 v167, v45, 0xbf75a155, v154
	v_fma_f32 v170, 0xbe11bafb, v51, -v130
	v_fma_f32 v172, 0xbf75a155, v51, -v141
	v_dual_fmamk_f32 v181, v121, 0xbf75a155, v123 :: v_dual_add_f32 v56, v175, v56
	s_delay_alu instid0(VALU_DEP_4) | instskip(SKIP_2) | instid1(VALU_DEP_4)
	v_dual_mul_f32 v142, 0x3f7d64f0, v156 :: v_dual_add_f32 v83, v167, v83
	v_fmamk_f32 v173, v47, 0x3ed4b147, v151
	v_fma_f32 v176, 0xbf27a4f4, v55, -v128
	v_add_f32_e32 v56, v181, v56
	s_delay_alu instid0(VALU_DEP_4)
	v_fma_f32 v178, 0xbe11bafb, v55, -v142
	v_fmamk_f32 v179, v54, 0x3f575c64, v145
	v_add_f32_e32 v57, v170, v57
	v_add_f32_e32 v59, v172, v59
	v_add_f32_e32 v83, v173, v83
	v_fma_f32 v182, 0xbf75a155, v122, -v127
	v_fmamk_f32 v183, v121, 0x3f575c64, v133
	v_fma_f32 v186, 0xbf27a4f4, v122, -v159
	v_add_f32_e32 v57, v176, v57
	v_add_f32_e32 v59, v178, v59
	;; [unrolled: 1-line block ×4, first 2 shown]
	s_delay_alu instid0(VALU_DEP_3) | instskip(NEXT) | instid1(VALU_DEP_3)
	v_dual_add_f32 v57, v182, v57 :: v_dual_add_f32 v84, v184, v59
	v_dual_add_f32 v58, v185, v163 :: v_dual_add_f32 v59, v186, v164
	s_and_saveexec_b32 s1, s0
	s_cbranch_execz .LBB0_19
; %bb.18:
	v_mul_f32_e32 v201, 0x3f0a6770, v136
	v_mul_f32_e32 v165, 0x3f575c64, v46
	;; [unrolled: 1-line block ×3, first 2 shown]
	v_dual_mul_f32 v194, 0xbf27a4f4, v51 :: v_dual_mul_f32 v199, 0xbf27a4f4, v122
	s_delay_alu instid0(VALU_DEP_4)
	v_fmamk_f32 v203, v45, 0x3f575c64, v201
	v_mul_f32_e32 v197, 0xbe903f40, v134
	v_mul_f32_e32 v163, 0xbf75a155, v43
	v_mul_f32_e32 v196, 0xbf27a4f4, v121
	v_mul_f32_e32 v198, 0x3ed4b147, v55
	v_mul_f32_e32 v202, 0xbe11bafb, v122
	v_fmamk_f32 v200, v42, 0xbf75a155, v197
	v_mul_f32_e32 v193, 0x3f575c64, v121
	v_fmamk_f32 v164, v140, 0x3e903f40, v163
	v_dual_mul_f32 v177, 0xbf75a155, v45 :: v_dual_mul_f32 v178, 0xbf75a155, v46
	s_delay_alu instid0(VALU_DEP_4) | instskip(SKIP_2) | instid1(VALU_DEP_3)
	v_dual_add_f32 v200, v36, v200 :: v_dual_mul_f32 v189, 0x3f575c64, v54
	v_mul_f32_e32 v190, 0x3f575c64, v55
	v_dual_mul_f32 v169, 0x3ed4b147, v42 :: v_dual_mul_f32 v170, 0x3ed4b147, v43
	v_add_f32_e32 v200, v203, v200
	v_fma_f32 v197, 0xbf75a155, v42, -v197
	v_mul_f32_e32 v188, 0xbe11bafb, v55
	v_fmamk_f32 v203, v47, 0xbf27a4f4, v204
	v_dual_mul_f32 v175, 0xbf27a4f4, v45 :: v_dual_mul_f32 v176, 0xbf27a4f4, v46
	s_delay_alu instid0(VALU_DEP_4) | instskip(SKIP_1) | instid1(VALU_DEP_4)
	v_add_f32_e32 v197, v36, v197
	v_fmac_f32_e32 v163, 0xbe903f40, v140
	v_dual_add_f32 v200, v203, v200 :: v_dual_mul_f32 v203, 0xbf7d64f0, v157
	v_dual_mul_f32 v182, 0xbf75a155, v51 :: v_dual_mul_f32 v191, 0xbf75a155, v121
	s_delay_alu instid0(VALU_DEP_3)
	v_add_f32_e32 v163, v37, v163
	v_dual_mul_f32 v179, 0xbe11bafb, v47 :: v_dual_add_f32 v164, v37, v164
	v_fmamk_f32 v166, v148, 0xbf0a6770, v165
	v_mul_f32_e32 v183, 0x3ed4b147, v47
	v_dual_mul_f32 v134, 0xbf4178ce, v134 :: v_dual_add_f32 v147, v147, v176
	v_add_f32_e32 v146, v146, v170
	s_delay_alu instid0(VALU_DEP_4) | instskip(SKIP_3) | instid1(VALU_DEP_3)
	v_add_f32_e32 v164, v166, v164
	v_fmamk_f32 v166, v150, 0x3f4178ce, v194
	v_fmac_f32_e32 v194, 0xbf4178ce, v150
	v_dual_mul_f32 v150, 0xbf0a6770, v150 :: v_dual_sub_f32 v145, v189, v145
	v_dual_add_f32 v155, v155, v190 :: v_dual_add_f32 v164, v166, v164
	v_fmac_f32_e32 v165, 0x3f0a6770, v148
	v_mul_f32_e32 v140, 0xbf4178ce, v140
	v_dual_mul_f32 v148, 0x3f7d64f0, v148 :: v_dual_sub_f32 v137, v169, v137
	v_sub_f32_e32 v151, v183, v151
	s_delay_alu instid0(VALU_DEP_4) | instskip(SKIP_2) | instid1(VALU_DEP_3)
	v_dual_add_f32 v163, v165, v163 :: v_dual_fmamk_f32 v166, v156, 0xbf68dda4, v198
	v_dual_fmac_f32 v198, 0x3f68dda4, v156 :: v_dual_add_f32 v161, v161, v178
	v_dual_mul_f32 v181, 0xbf75a155, v47 :: v_dual_mul_f32 v192, 0xbf75a155, v122
	v_add_f32_e32 v163, v194, v163
	s_delay_alu instid0(VALU_DEP_4) | instskip(SKIP_2) | instid1(VALU_DEP_4)
	v_dual_mul_f32 v195, 0x3f575c64, v122 :: v_dual_add_f32 v164, v166, v164
	v_fmamk_f32 v166, v162, 0x3f7d64f0, v202
	v_fmac_f32_e32 v202, 0xbf7d64f0, v162
	v_add_f32_e32 v198, v198, v163
	v_fma_f32 v201, 0x3f575c64, v45, -v201
	v_add_f32_e32 v146, v37, v146
	v_add_f32_e32 v164, v166, v164
	v_mul_f32_e32 v166, 0x3f68dda4, v152
	v_mul_f32_e32 v184, 0x3ed4b147, v51
	v_add_f32_e32 v194, v201, v197
	v_fma_f32 v197, 0xbf27a4f4, v47, -v204
	v_mul_f32_e32 v143, 0xbf0a6770, v143
	v_fmamk_f32 v165, v54, 0x3ed4b147, v166
	v_add_f32_e32 v141, v141, v182
	v_sub_f32_e32 v138, v175, v138
	v_add_f32_e32 v194, v197, v194
	v_fma_f32 v197, 0x3ed4b147, v54, -v166
	v_add_f32_e32 v165, v165, v200
	v_fmamk_f32 v200, v121, 0xbe11bafb, v203
	v_dual_add_f32 v166, v202, v198 :: v_dual_add_f32 v137, v36, v137
	s_delay_alu instid0(VALU_DEP_4) | instskip(SKIP_1) | instid1(VALU_DEP_4)
	v_add_f32_e32 v194, v197, v194
	v_fma_f32 v197, 0xbe11bafb, v121, -v203
	v_add_f32_e32 v163, v200, v165
	v_fmamk_f32 v165, v43, 0xbf27a4f4, v140
	v_dual_fmamk_f32 v200, v46, 0xbe11bafb, v148 :: v_dual_mul_f32 v171, 0xbe11bafb, v42
	v_mul_f32_e32 v172, 0xbe11bafb, v43
	v_dual_mul_f32 v180, 0xbe11bafb, v51 :: v_dual_mul_f32 v187, 0xbe11bafb, v54
	s_delay_alu instid0(VALU_DEP_4) | instskip(SKIP_3) | instid1(VALU_DEP_4)
	v_add_f32_e32 v198, v37, v165
	v_add_f32_e32 v165, v197, v194
	v_fma_f32 v194, 0xbf27a4f4, v42, -v134
	v_dual_mul_f32 v197, 0x3f7d64f0, v136 :: v_dual_add_f32 v146, v147, v146
	v_add_f32_e32 v136, v200, v198
	v_fmamk_f32 v198, v51, 0x3f575c64, v150
	v_mul_f32_e32 v200, 0xbe903f40, v156
	v_dual_add_f32 v156, v36, v194 :: v_dual_add_f32 v137, v138, v137
	v_dual_sub_f32 v138, v181, v139 :: v_dual_mul_f32 v167, 0x3f575c64, v42
	v_mul_f32_e32 v168, 0x3f575c64, v43
	v_fma_f32 v194, 0xbe11bafb, v45, -v197
	v_dual_add_f32 v136, v198, v136 :: v_dual_sub_f32 v139, v196, v149
	s_delay_alu instid0(VALU_DEP_4) | instskip(SKIP_4) | instid1(VALU_DEP_3)
	v_dual_mul_f32 v162, 0x3f68dda4, v162 :: v_dual_add_f32 v137, v138, v137
	v_add_f32_e32 v142, v142, v188
	v_sub_f32_e32 v138, v187, v135
	v_dual_add_f32 v160, v160, v172 :: v_dual_fmac_f32 v197, 0xbe11bafb, v45
	v_dual_add_f32 v141, v141, v146 :: v_dual_fmamk_f32 v198, v55, 0xbf75a155, v200
	v_add_f32_e32 v137, v138, v137
	s_delay_alu instid0(VALU_DEP_3) | instskip(NEXT) | instid1(VALU_DEP_3)
	v_dual_sub_f32 v129, v167, v129 :: v_dual_add_f32 v160, v37, v160
	v_add_f32_e32 v141, v142, v141
	s_delay_alu instid0(VALU_DEP_4) | instskip(NEXT) | instid1(VALU_DEP_3)
	v_add_f32_e32 v136, v198, v136
	v_dual_add_f32 v118, v37, v118 :: v_dual_add_f32 v129, v36, v129
	s_delay_alu instid0(VALU_DEP_4) | instskip(NEXT) | instid1(VALU_DEP_2)
	v_dual_add_f32 v160, v161, v160 :: v_dual_mul_f32 v173, 0x3ed4b147, v45
	v_dual_mul_f32 v174, 0x3ed4b147, v46 :: v_dual_add_f32 v117, v118, v117
	v_add_f32_e32 v142, v144, v195
	v_add_f32_e32 v144, v131, v168
	v_fmamk_f32 v172, v122, 0x3ed4b147, v162
	v_add_f32_e32 v118, v36, v120
	v_add_f32_e32 v116, v117, v116
	v_mul_f32_e32 v198, 0x3f68dda4, v157
	v_sub_f32_e32 v120, v173, v124
	v_add_f32_e32 v157, v172, v136
	v_dual_add_f32 v117, v118, v119 :: v_dual_sub_f32 v136, v171, v153
	v_add_f32_e32 v115, v116, v115
	v_dual_mul_f32 v185, 0xbf27a4f4, v54 :: v_dual_mul_f32 v186, 0xbf27a4f4, v55
	v_dual_add_f32 v158, v158, v184 :: v_dual_sub_f32 v119, v179, v125
	v_add_f32_e32 v118, v120, v129
	s_delay_alu instid0(VALU_DEP_4) | instskip(SKIP_2) | instid1(VALU_DEP_4)
	v_add_f32_e32 v114, v115, v114
	v_dual_add_f32 v136, v36, v136 :: v_dual_add_f32 v53, v117, v53
	v_fmac_f32_e32 v134, 0xbf27a4f4, v42
	v_add_f32_e32 v117, v119, v118
	v_sub_f32_e32 v118, v185, v126
	v_dual_sub_f32 v154, v177, v154 :: v_dual_add_f32 v113, v114, v113
	v_sub_f32_e32 v133, v193, v133
	v_add_f32_e32 v53, v53, v52
	s_delay_alu instid0(VALU_DEP_4) | instskip(NEXT) | instid1(VALU_DEP_4)
	v_add_f32_e32 v115, v118, v117
	v_add_f32_e32 v136, v154, v136
	;; [unrolled: 1-line block ×6, first 2 shown]
	s_delay_alu instid0(VALU_DEP_4) | instskip(NEXT) | instid1(VALU_DEP_3)
	v_dual_add_f32 v151, v151, v136 :: v_dual_add_f32 v42, v42, v111
	v_dual_add_f32 v36, v197, v36 :: v_dual_add_f32 v49, v50, v49
	v_sub_f32_e32 v53, v191, v123
	s_delay_alu instid0(VALU_DEP_3) | instskip(SKIP_3) | instid1(VALU_DEP_3)
	v_dual_add_f32 v145, v145, v151 :: v_dual_add_f32 v156, v194, v156
	v_fma_f32 v194, 0x3f575c64, v47, -v143
	v_dual_add_f32 v41, v42, v41 :: v_dual_mul_f32 v152, 0xbe903f40, v152
	v_add_f32_e32 v131, v142, v141
	v_dual_add_f32 v135, v139, v145 :: v_dual_add_f32 v156, v194, v156
	v_add_f32_e32 v45, v49, v48
	s_delay_alu instid0(VALU_DEP_4) | instskip(SKIP_2) | instid1(VALU_DEP_4)
	v_fma_f32 v194, 0xbf75a155, v54, -v152
	v_dual_fmac_f32 v143, 0x3f575c64, v47 :: v_dual_add_f32 v130, v130, v180
	v_fmac_f32_e32 v152, 0xbf75a155, v54
	v_add_f32_e32 v42, v45, v44
	s_delay_alu instid0(VALU_DEP_4) | instskip(SKIP_2) | instid1(VALU_DEP_4)
	v_add_f32_e32 v153, v194, v156
	v_fma_f32 v156, 0x3ed4b147, v121, -v198
	v_fma_f32 v44, 0xbf75a155, v55, -v200
	v_dual_add_f32 v36, v143, v36 :: v_dual_add_f32 v39, v42, v39
	s_delay_alu instid0(VALU_DEP_3) | instskip(SKIP_1) | instid1(VALU_DEP_3)
	v_dual_add_f32 v139, v37, v144 :: v_dual_add_f32 v156, v156, v153
	v_dual_add_f32 v153, v158, v160 :: v_dual_add_f32 v128, v128, v186
	v_add_f32_e32 v42, v152, v36
	s_delay_alu instid0(VALU_DEP_4) | instskip(SKIP_1) | instid1(VALU_DEP_4)
	v_add_f32_e32 v36, v39, v38
	v_add_f32_e32 v116, v127, v192
	;; [unrolled: 1-line block ×3, first 2 shown]
	v_fma_f32 v43, 0xbf27a4f4, v43, -v140
	v_fmac_f32_e32 v198, 0x3ed4b147, v121
	s_delay_alu instid0(VALU_DEP_2) | instskip(SKIP_1) | instid1(VALU_DEP_1)
	v_dual_add_f32 v136, v154, v153 :: v_dual_add_f32 v37, v37, v43
	v_fma_f32 v43, 0xbe11bafb, v46, -v148
	v_dual_add_f32 v38, v198, v42 :: v_dual_add_f32 v37, v43, v37
	v_fma_f32 v43, 0x3f575c64, v51, -v150
	v_dual_add_f32 v132, v132, v174 :: v_dual_add_f32 v51, v53, v115
	s_delay_alu instid0(VALU_DEP_2) | instskip(SKIP_2) | instid1(VALU_DEP_3)
	v_add_f32_e32 v43, v43, v37
	v_add_f32_e32 v37, v41, v40
	v_fma_f32 v41, 0x3ed4b147, v122, -v162
	v_add_f32_e32 v40, v44, v43
	v_add_f32_e32 v132, v132, v139
	v_lshl_add_u32 v43, v85, 3, v87
	ds_store_b64 v86, v[36:37]
	v_add_f32_e32 v39, v41, v40
	v_add_f32_e32 v124, v130, v132
	;; [unrolled: 1-line block ×3, first 2 shown]
	v_add_nc_u32_e32 v36, 0x400, v43
	v_add_nc_u32_e32 v37, 0x800, v43
	;; [unrolled: 1-line block ×3, first 2 shown]
	v_dual_add_f32 v120, v128, v124 :: v_dual_add_nc_u32 v41, 0x1000, v43
	s_delay_alu instid0(VALU_DEP_1)
	v_add_f32_e32 v52, v116, v120
	ds_store_2addr_b64 v43, v[51:52], v[130:131] offset0:72 offset1:144
	ds_store_2addr_b64 v36, v[135:136], v[156:157] offset0:88 offset1:160
	;; [unrolled: 1-line block ×5, first 2 shown]
.LBB0_19:
	s_wait_alu 0xfffe
	s_or_b32 exec_lo, exec_lo, s1
	s_add_nc_u64 s[2:3], s[16:17], 0x18c0
	global_wb scope:SCOPE_SE
	s_wait_dscnt 0x0
	s_barrier_signal -1
	s_barrier_wait -1
	global_inv scope:SCOPE_SE
	s_clause 0x7
	global_load_b64 v[111:112], v[61:62], off offset:6336
	global_load_b64 v[113:114], v88, s[2:3] offset:3168
	global_load_b64 v[115:116], v88, s[2:3] offset:704
	;; [unrolled: 1-line block ×7, first 2 shown]
	v_add_nc_u32_e32 v38, 0x800, v86
	ds_load_2addr_b64 v[39:42], v86 offset1:88
	ds_load_2addr_b64 v[43:46], v38 offset0:140 offset1:228
	v_add_nc_u32_e32 v37, 0x400, v86
	s_wait_loadcnt_dscnt 0x701
	v_dual_mul_f32 v127, v39, v112 :: v_dual_add_nc_u32 v36, 0x1000, v86
	v_mul_f32_e32 v55, v40, v112
	s_wait_loadcnt_dscnt 0x500
	v_dual_mul_f32 v128, v44, v114 :: v_dual_mul_f32 v129, v42, v116
	v_mul_f32_e32 v112, v43, v114
	v_mul_f32_e32 v114, v41, v116
	ds_load_2addr_b64 v[47:50], v37 offset0:48 offset1:136
	ds_load_2addr_b64 v[51:54], v36 offset0:60 offset1:148
	s_wait_loadcnt 0x4
	v_dual_mul_f32 v130, v46, v118 :: v_dual_fmac_f32 v127, v40, v111
	v_mul_f32_e32 v116, v45, v118
	v_fmac_f32_e32 v114, v42, v115
	s_wait_loadcnt_dscnt 0x101
	v_mul_f32_e32 v133, v50, v124
	v_mul_f32_e32 v131, v48, v120
	;; [unrolled: 1-line block ×3, first 2 shown]
	s_wait_dscnt 0x0
	v_mul_f32_e32 v132, v52, v122
	v_mul_f32_e32 v120, v51, v122
	;; [unrolled: 1-line block ×3, first 2 shown]
	s_wait_loadcnt 0x0
	v_mul_f32_e32 v134, v54, v126
	v_mul_f32_e32 v124, v53, v126
	v_fma_f32 v126, v39, v111, -v55
	v_fma_f32 v111, v43, v113, -v128
	v_fmac_f32_e32 v112, v44, v113
	v_fma_f32 v113, v41, v115, -v129
	v_fma_f32 v115, v45, v117, -v130
	v_fmac_f32_e32 v116, v46, v117
	v_fma_f32 v117, v47, v119, -v131
	v_fmac_f32_e32 v118, v48, v119
	;; [unrolled: 2-line block ×5, first 2 shown]
	ds_store_2addr_b64 v86, v[126:127], v[113:114] offset1:88
	ds_store_2addr_b64 v38, v[111:112], v[115:116] offset0:140 offset1:228
	ds_store_2addr_b64 v37, v[117:118], v[121:122] offset0:48 offset1:136
	;; [unrolled: 1-line block ×3, first 2 shown]
	s_and_saveexec_b32 s1, vcc_lo
	s_cbranch_execz .LBB0_21
; %bb.20:
	s_wait_alu 0xfffe
	v_add_co_u32 v39, s2, s2, v88
	s_wait_alu 0xf1ff
	v_add_co_ci_u32_e64 v40, null, s3, 0, s2
	s_clause 0x1
	global_load_b64 v[41:42], v[39:40], off offset:2816
	global_load_b64 v[39:40], v[39:40], off offset:5984
	ds_load_b64 v[43:44], v86 offset:2816
	ds_load_b64 v[45:46], v86 offset:5984
	s_wait_loadcnt_dscnt 0x101
	v_mul_f32_e32 v47, v44, v42
	s_wait_loadcnt_dscnt 0x0
	v_dual_mul_f32 v48, v43, v42 :: v_dual_mul_f32 v49, v46, v40
	v_mul_f32_e32 v42, v45, v40
	s_delay_alu instid0(VALU_DEP_3) | instskip(NEXT) | instid1(VALU_DEP_3)
	v_fma_f32 v47, v43, v41, -v47
	v_fmac_f32_e32 v48, v44, v41
	s_delay_alu instid0(VALU_DEP_4) | instskip(NEXT) | instid1(VALU_DEP_4)
	v_fma_f32 v41, v45, v39, -v49
	v_fmac_f32_e32 v42, v46, v39
	ds_store_b64 v86, v[47:48] offset:2816
	ds_store_b64 v86, v[41:42] offset:5984
.LBB0_21:
	s_wait_alu 0xfffe
	s_or_b32 exec_lo, exec_lo, s1
	global_wb scope:SCOPE_SE
	s_wait_dscnt 0x0
	s_barrier_signal -1
	s_barrier_wait -1
	global_inv scope:SCOPE_SE
	ds_load_2addr_b64 v[43:46], v86 offset1:88
	ds_load_2addr_b64 v[51:54], v38 offset0:140 offset1:228
	ds_load_2addr_b64 v[39:42], v37 offset0:48 offset1:136
	;; [unrolled: 1-line block ×3, first 2 shown]
	s_and_saveexec_b32 s1, vcc_lo
	s_cbranch_execz .LBB0_23
; %bb.22:
	ds_load_b64 v[58:59], v86 offset:2816
	ds_load_b64 v[83:84], v86 offset:5984
.LBB0_23:
	s_wait_alu 0xfffe
	s_or_b32 exec_lo, exec_lo, s1
	s_wait_dscnt 0x2
	v_dual_sub_f32 v53, v45, v53 :: v_dual_sub_f32 v54, v46, v54
	s_wait_dscnt 0x0
	v_dual_sub_f32 v47, v39, v47 :: v_dual_sub_f32 v48, v40, v48
	v_dual_sub_f32 v113, v43, v51 :: v_dual_sub_f32 v114, v44, v52
	s_delay_alu instid0(VALU_DEP_3) | instskip(NEXT) | instid1(VALU_DEP_3)
	v_fma_f32 v51, v45, 2.0, -v53
	v_fma_f32 v45, v39, 2.0, -v47
	v_dual_sub_f32 v38, v58, v83 :: v_dual_sub_f32 v39, v59, v84
	s_delay_alu instid0(VALU_DEP_4) | instskip(SKIP_2) | instid1(VALU_DEP_4)
	v_fma_f32 v111, v43, 2.0, -v113
	v_fma_f32 v112, v44, 2.0, -v114
	v_dual_sub_f32 v43, v41, v49 :: v_dual_sub_f32 v44, v42, v50
	v_fma_f32 v36, v58, 2.0, -v38
	v_fma_f32 v37, v59, 2.0, -v39
	;; [unrolled: 1-line block ×6, first 2 shown]
	global_wb scope:SCOPE_SE
	s_barrier_signal -1
	s_barrier_wait -1
	global_inv scope:SCOPE_SE
	ds_store_b128 v92, v[111:114]
	ds_store_b128 v96, v[51:54]
	;; [unrolled: 1-line block ×4, first 2 shown]
	s_and_saveexec_b32 s1, vcc_lo
	s_cbranch_execz .LBB0_25
; %bb.24:
	ds_store_b128 v93, v[36:39]
.LBB0_25:
	s_wait_alu 0xfffe
	s_or_b32 exec_lo, exec_lo, s1
	v_add_nc_u32_e32 v40, 0x800, v86
	v_add_nc_u32_e32 v41, 0x400, v86
	;; [unrolled: 1-line block ×3, first 2 shown]
	global_wb scope:SCOPE_SE
	s_wait_dscnt 0x0
	s_barrier_signal -1
	s_barrier_wait -1
	global_inv scope:SCOPE_SE
	ds_load_2addr_b64 v[44:47], v86 offset1:88
	ds_load_2addr_b64 v[52:55], v40 offset0:140 offset1:228
	ds_load_2addr_b64 v[40:43], v41 offset0:48 offset1:136
	;; [unrolled: 1-line block ×3, first 2 shown]
	s_and_saveexec_b32 s1, vcc_lo
	s_cbranch_execz .LBB0_27
; %bb.26:
	ds_load_b64 v[36:37], v86 offset:2816
	ds_load_b64 v[38:39], v86 offset:5984
.LBB0_27:
	s_wait_alu 0xfffe
	s_or_b32 exec_lo, exec_lo, s1
	s_wait_dscnt 0x2
	v_mul_f32_e32 v59, v80, v52
	v_mul_f32_e32 v83, v80, v55
	;; [unrolled: 1-line block ×3, first 2 shown]
	global_wb scope:SCOPE_SE
	s_wait_dscnt 0x0
	s_barrier_signal -1
	s_barrier_wait -1
	v_fmac_f32_e32 v83, v79, v54
	v_fmac_f32_e32 v58, v79, v52
	v_fma_f32 v52, v79, v53, -v59
	v_mul_f32_e32 v84, v80, v54
	global_inv scope:SCOPE_SE
	v_fma_f32 v53, v79, v55, -v84
	v_mul_f32_e32 v54, v80, v48
	v_mul_f32_e32 v55, v80, v51
	;; [unrolled: 1-line block ×3, first 2 shown]
	s_delay_alu instid0(VALU_DEP_3) | instskip(NEXT) | instid1(VALU_DEP_3)
	v_fma_f32 v54, v79, v49, -v54
	v_fmac_f32_e32 v55, v79, v50
	s_delay_alu instid0(VALU_DEP_3) | instskip(SKIP_2) | instid1(VALU_DEP_3)
	v_dual_fmac_f32 v88, v79, v48 :: v_dual_mul_f32 v49, v80, v38
	v_mul_f32_e32 v48, v80, v50
	v_mul_f32_e32 v84, v80, v39
	v_sub_f32_e32 v50, v40, v88
	s_delay_alu instid0(VALU_DEP_3) | instskip(SKIP_1) | instid1(VALU_DEP_4)
	v_fma_f32 v59, v79, v51, -v48
	v_sub_f32_e32 v51, v41, v54
	v_fmac_f32_e32 v84, v79, v38
	v_fma_f32 v79, v79, v39, -v49
	v_dual_sub_f32 v38, v44, v58 :: v_dual_sub_f32 v39, v45, v52
	v_sub_f32_e32 v58, v42, v55
	s_delay_alu instid0(VALU_DEP_3)
	v_dual_sub_f32 v54, v36, v84 :: v_dual_sub_f32 v55, v37, v79
	v_dual_sub_f32 v48, v46, v83 :: v_dual_sub_f32 v49, v47, v53
	v_sub_f32_e32 v59, v43, v59
	v_fma_f32 v44, v44, 2.0, -v38
	v_fma_f32 v45, v45, 2.0, -v39
	;; [unrolled: 1-line block ×10, first 2 shown]
	ds_store_2addr_b64 v100, v[44:45], v[38:39] offset1:2
	ds_store_2addr_b64 v99, v[46:47], v[48:49] offset1:2
	ds_store_2addr_b64 v98, v[40:41], v[50:51] offset1:2
	ds_store_2addr_b64 v97, v[42:43], v[58:59] offset1:2
	s_and_saveexec_b32 s1, vcc_lo
	s_cbranch_execz .LBB0_29
; %bb.28:
	v_and_or_b32 v36, 0x3fc, v89, v90
	s_delay_alu instid0(VALU_DEP_1)
	v_lshl_add_u32 v36, v36, 3, v87
	ds_store_2addr_b64 v36, v[52:53], v[54:55] offset1:2
.LBB0_29:
	s_wait_alu 0xfffe
	s_or_b32 exec_lo, exec_lo, s1
	v_add_nc_u32_e32 v36, 0x800, v86
	v_add_nc_u32_e32 v37, 0x400, v86
	;; [unrolled: 1-line block ×3, first 2 shown]
	global_wb scope:SCOPE_SE
	s_wait_dscnt 0x0
	s_barrier_signal -1
	s_barrier_wait -1
	global_inv scope:SCOPE_SE
	ds_load_2addr_b64 v[40:43], v86 offset1:88
	ds_load_2addr_b64 v[48:51], v36 offset0:140 offset1:228
	ds_load_2addr_b64 v[36:39], v37 offset0:48 offset1:136
	ds_load_2addr_b64 v[44:47], v44 offset0:60 offset1:148
	s_and_saveexec_b32 s1, vcc_lo
	s_cbranch_execz .LBB0_31
; %bb.30:
	ds_load_b64 v[52:53], v86 offset:2816
	ds_load_b64 v[54:55], v86 offset:5984
.LBB0_31:
	s_wait_alu 0xfffe
	s_or_b32 exec_lo, exec_lo, s1
	s_wait_dscnt 0x2
	v_mul_f32_e32 v79, v82, v51
	v_mul_f32_e32 v58, v82, v49
	s_wait_dscnt 0x0
	v_mul_f32_e32 v83, v82, v55
	global_wb scope:SCOPE_SE
	s_barrier_signal -1
	v_fmac_f32_e32 v79, v81, v50
	v_fmac_f32_e32 v58, v81, v48
	v_mul_f32_e32 v59, v82, v48
	v_fmac_f32_e32 v83, v81, v54
	s_barrier_wait -1
	global_inv scope:SCOPE_SE
	v_fma_f32 v48, v81, v49, -v59
	v_mul_f32_e32 v49, v82, v45
	s_delay_alu instid0(VALU_DEP_1) | instskip(SKIP_2) | instid1(VALU_DEP_3)
	v_dual_mul_f32 v80, v82, v50 :: v_dual_fmac_f32 v49, v81, v44
	v_mul_f32_e32 v59, v82, v47
	v_mul_f32_e32 v50, v82, v44
	v_fma_f32 v51, v81, v51, -v80
	v_mul_f32_e32 v80, v82, v46
	v_sub_f32_e32 v44, v40, v58
	v_fmac_f32_e32 v59, v81, v46
	v_fma_f32 v50, v81, v45, -v50
	v_sub_f32_e32 v45, v41, v48
	v_fma_f32 v80, v81, v47, -v80
	v_dual_mul_f32 v47, v82, v54 :: v_dual_sub_f32 v48, v36, v49
	s_delay_alu instid0(VALU_DEP_4) | instskip(SKIP_1) | instid1(VALU_DEP_3)
	v_dual_sub_f32 v49, v37, v50 :: v_dual_sub_f32 v50, v38, v59
	v_sub_f32_e32 v46, v42, v79
	v_fma_f32 v58, v81, v55, -v47
	v_sub_f32_e32 v47, v43, v51
	v_sub_f32_e32 v51, v39, v80
	v_fma_f32 v40, v40, 2.0, -v44
	v_fma_f32 v41, v41, 2.0, -v45
	;; [unrolled: 1-line block ×3, first 2 shown]
	v_sub_f32_e32 v38, v52, v83
	v_fma_f32 v55, v39, 2.0, -v51
	v_sub_f32_e32 v39, v53, v58
	v_fma_f32 v42, v42, 2.0, -v46
	v_fma_f32 v43, v43, 2.0, -v47
	;; [unrolled: 1-line block ×4, first 2 shown]
	ds_store_2addr_b64 v104, v[40:41], v[44:45] offset1:4
	ds_store_2addr_b64 v103, v[42:43], v[46:47] offset1:4
	;; [unrolled: 1-line block ×4, first 2 shown]
	s_and_saveexec_b32 s1, vcc_lo
	s_cbranch_execz .LBB0_33
; %bb.32:
	v_and_or_b32 v40, 0x3f8, v89, v91
	v_fma_f32 v37, v53, 2.0, -v39
	v_fma_f32 v36, v52, 2.0, -v38
	s_delay_alu instid0(VALU_DEP_3)
	v_lshl_add_u32 v40, v40, 3, v87
	ds_store_2addr_b64 v40, v[36:37], v[38:39] offset1:4
.LBB0_33:
	s_wait_alu 0xfffe
	s_or_b32 exec_lo, exec_lo, s1
	global_wb scope:SCOPE_SE
	s_wait_dscnt 0x0
	s_barrier_signal -1
	s_barrier_wait -1
	global_inv scope:SCOPE_SE
	ds_load_b64 v[53:54], v86 offset:5632
	v_add_nc_u32_e32 v37, 0x400, v86
	v_add_nc_u32_e32 v36, 0x1000, v86
	;; [unrolled: 1-line block ×3, first 2 shown]
	s_wait_dscnt 0x0
	v_mul_f32_e32 v58, v3, v53
	ds_load_2addr_b64 v[40:43], v37 offset0:48 offset1:136
	ds_load_2addr_b64 v[44:47], v36 offset0:16 offset1:104
	;; [unrolled: 1-line block ×3, first 2 shown]
	ds_load_2addr_b64 v[79:82], v86 offset1:88
	v_mul_f32_e32 v55, v3, v54
	global_wb scope:SCOPE_SE
	s_wait_dscnt 0x0
	s_barrier_signal -1
	s_barrier_wait -1
	global_inv scope:SCOPE_SE
	v_mul_f32_e32 v59, v1, v43
	v_dual_mul_f32 v83, v1, v42 :: v_dual_mul_f32 v84, v3, v45
	v_dual_mul_f32 v88, v3, v44 :: v_dual_mul_f32 v89, v1, v50
	;; [unrolled: 1-line block ×4, first 2 shown]
	s_delay_alu instid0(VALU_DEP_4)
	v_dual_mul_f32 v1, v1, v51 :: v_dual_fmac_f32 v84, v2, v44
	v_fmac_f32_e32 v59, v0, v42
	v_fma_f32 v42, v0, v43, -v83
	v_fma_f32 v43, v2, v45, -v88
	v_dual_fmac_f32 v55, v2, v53 :: v_dual_fmac_f32 v92, v0, v51
	v_fma_f32 v53, v2, v54, -v58
	v_fma_f32 v47, v2, v47, -v3
	s_delay_alu instid0(VALU_DEP_4)
	v_dual_add_f32 v44, v42, v43 :: v_dual_fmac_f32 v89, v0, v49
	v_dual_fmac_f32 v91, v2, v46 :: v_dual_add_f32 v2, v59, v84
	v_fma_f32 v49, v0, v52, -v1
	v_dual_add_f32 v1, v79, v59 :: v_dual_add_f32 v46, v80, v42
	v_fma_f32 v45, v0, v50, -v90
	v_sub_f32_e32 v3, v42, v43
	v_fma_f32 v0, -0.5, v2, v79
	s_delay_alu instid0(VALU_DEP_4)
	v_add_f32_e32 v2, v1, v84
	v_sub_f32_e32 v50, v59, v84
	v_fma_f32 v1, -0.5, v44, v80
	v_add_f32_e32 v44, v89, v91
	v_fmamk_f32 v42, v3, 0xbf5db3d7, v0
	v_fmac_f32_e32 v0, 0x3f5db3d7, v3
	v_add_f32_e32 v3, v46, v43
	v_fmamk_f32 v43, v50, 0x3f5db3d7, v1
	v_dual_fmac_f32 v1, 0xbf5db3d7, v50 :: v_dual_add_f32 v50, v45, v47
	v_sub_f32_e32 v51, v45, v47
	v_add_f32_e32 v45, v82, v45
	v_dual_sub_f32 v54, v49, v53 :: v_dual_sub_f32 v59, v92, v55
	s_delay_alu instid0(VALU_DEP_4) | instskip(SKIP_4) | instid1(VALU_DEP_2)
	v_fmac_f32_e32 v82, -0.5, v50
	v_add_f32_e32 v46, v81, v89
	v_fma_f32 v81, -0.5, v44, v81
	v_sub_f32_e32 v50, v89, v91
	v_add_f32_e32 v45, v45, v47
	v_dual_add_f32 v58, v41, v49 :: v_dual_fmamk_f32 v47, v50, 0x3f5db3d7, v82
	v_fmac_f32_e32 v82, 0xbf5db3d7, v50
	v_add_f32_e32 v50, v49, v53
	v_add_f32_e32 v44, v46, v91
	v_fmamk_f32 v46, v51, 0xbf5db3d7, v81
	v_fmac_f32_e32 v81, 0x3f5db3d7, v51
	v_add_f32_e32 v51, v92, v55
	v_dual_fmac_f32 v41, -0.5, v50 :: v_dual_add_f32 v52, v40, v92
	s_delay_alu instid0(VALU_DEP_2) | instskip(NEXT) | instid1(VALU_DEP_2)
	v_fma_f32 v40, -0.5, v51, v40
	v_dual_add_f32 v49, v52, v55 :: v_dual_add_f32 v50, v58, v53
	s_delay_alu instid0(VALU_DEP_3) | instskip(NEXT) | instid1(VALU_DEP_3)
	v_fmamk_f32 v52, v59, 0x3f5db3d7, v41
	v_fmamk_f32 v51, v54, 0xbf5db3d7, v40
	v_fmac_f32_e32 v40, 0x3f5db3d7, v54
	v_fmac_f32_e32 v41, 0xbf5db3d7, v59
	ds_store_2addr_b64 v107, v[2:3], v[42:43] offset1:8
	ds_store_b64 v107, v[0:1] offset:128
	ds_store_2addr_b64 v106, v[44:45], v[46:47] offset1:8
	ds_store_b64 v106, v[81:82] offset:128
	;; [unrolled: 2-line block ×3, first 2 shown]
	global_wb scope:SCOPE_SE
	s_wait_dscnt 0x0
	s_barrier_signal -1
	s_barrier_wait -1
	global_inv scope:SCOPE_SE
	ds_load_2addr_b64 v[44:47], v37 offset0:48 offset1:136
	ds_load_2addr_b64 v[0:3], v36 offset0:16 offset1:104
	;; [unrolled: 1-line block ×3, first 2 shown]
	ds_load_b64 v[53:54], v86 offset:5632
	ds_load_2addr_b64 v[40:43], v86 offset1:88
	global_wb scope:SCOPE_SE
	s_wait_dscnt 0x0
	s_barrier_signal -1
	s_barrier_wait -1
	global_inv scope:SCOPE_SE
	v_mul_f32_e32 v37, v25, v47
	v_mul_f32_e32 v25, v25, v46
	;; [unrolled: 1-line block ×4, first 2 shown]
	s_delay_alu instid0(VALU_DEP_4) | instskip(NEXT) | instid1(VALU_DEP_4)
	v_fmac_f32_e32 v37, v24, v46
	v_fma_f32 v24, v24, v47, -v25
	v_mul_f32_e32 v25, v13, v50
	v_dual_fmac_f32 v55, v26, v0 :: v_dual_mul_f32 v0, v13, v49
	s_delay_alu instid0(VALU_DEP_2) | instskip(NEXT) | instid1(VALU_DEP_2)
	v_fmac_f32_e32 v25, v12, v49
	v_fma_f32 v12, v12, v50, -v0
	v_mul_f32_e32 v0, v9, v51
	v_fma_f32 v1, v26, v1, -v27
	v_dual_mul_f32 v26, v9, v52 :: v_dual_mul_f32 v13, v15, v3
	v_mul_f32_e32 v15, v15, v2
	s_delay_alu instid0(VALU_DEP_4) | instskip(NEXT) | instid1(VALU_DEP_3)
	v_fma_f32 v27, v8, v52, -v0
	v_fmac_f32_e32 v26, v8, v51
	s_delay_alu instid0(VALU_DEP_4) | instskip(SKIP_2) | instid1(VALU_DEP_3)
	v_dual_add_f32 v0, v37, v55 :: v_dual_fmac_f32 v13, v14, v2
	v_mul_f32_e32 v2, v11, v53
	v_fma_f32 v14, v14, v3, -v15
	v_fma_f32 v8, -0.5, v0, v40
	v_mul_f32_e32 v15, v11, v54
	v_add_f32_e32 v3, v40, v37
	v_fma_f32 v46, v10, v54, -v2
	v_add_f32_e32 v2, v24, v1
	s_delay_alu instid0(VALU_DEP_4) | instskip(SKIP_1) | instid1(VALU_DEP_3)
	v_fmac_f32_e32 v15, v10, v53
	v_sub_f32_e32 v10, v24, v1
	v_fma_f32 v9, -0.5, v2, v41
	s_delay_alu instid0(VALU_DEP_2) | instskip(SKIP_4) | instid1(VALU_DEP_1)
	v_fmamk_f32 v2, v10, 0xbf5db3d7, v8
	v_fmac_f32_e32 v8, 0x3f5db3d7, v10
	v_dual_add_f32 v0, v3, v55 :: v_dual_add_f32 v3, v41, v24
	v_dual_add_f32 v24, v42, v25 :: v_dual_sub_f32 v11, v37, v55
	v_dual_add_f32 v10, v25, v13 :: v_dual_sub_f32 v37, v12, v14
	v_fma_f32 v42, -0.5, v10, v42
	s_delay_alu instid0(VALU_DEP_4) | instskip(NEXT) | instid1(VALU_DEP_4)
	v_add_f32_e32 v1, v3, v1
	v_dual_add_f32 v10, v24, v13 :: v_dual_fmamk_f32 v3, v11, 0x3f5db3d7, v9
	v_fmac_f32_e32 v9, 0xbf5db3d7, v11
	v_dual_add_f32 v11, v12, v14 :: v_dual_add_f32 v12, v43, v12
	v_dual_sub_f32 v13, v25, v13 :: v_dual_sub_f32 v24, v27, v46
	v_fmamk_f32 v40, v37, 0xbf5db3d7, v42
	s_delay_alu instid0(VALU_DEP_3) | instskip(NEXT) | instid1(VALU_DEP_4)
	v_dual_fmac_f32 v42, 0x3f5db3d7, v37 :: v_dual_fmac_f32 v43, -0.5, v11
	v_dual_add_f32 v11, v12, v14 :: v_dual_add_f32 v12, v26, v15
	v_add_f32_e32 v14, v44, v26
	s_delay_alu instid0(VALU_DEP_3) | instskip(SKIP_1) | instid1(VALU_DEP_4)
	v_dual_sub_f32 v26, v26, v15 :: v_dual_fmamk_f32 v41, v13, 0x3f5db3d7, v43
	v_add_f32_e32 v25, v45, v27
	v_fma_f32 v44, -0.5, v12, v44
	s_delay_alu instid0(VALU_DEP_4) | instskip(NEXT) | instid1(VALU_DEP_2)
	v_dual_add_f32 v12, v14, v15 :: v_dual_fmac_f32 v43, 0xbf5db3d7, v13
	v_dual_add_f32 v13, v27, v46 :: v_dual_fmamk_f32 v14, v24, 0xbf5db3d7, v44
	s_delay_alu instid0(VALU_DEP_1) | instskip(SKIP_1) | instid1(VALU_DEP_2)
	v_dual_fmac_f32 v44, 0x3f5db3d7, v24 :: v_dual_fmac_f32 v45, -0.5, v13
	v_add_f32_e32 v13, v25, v46
	v_fmamk_f32 v15, v26, 0x3f5db3d7, v45
	v_fmac_f32_e32 v45, 0xbf5db3d7, v26
	ds_store_2addr_b64 v110, v[0:1], v[2:3] offset1:24
	ds_store_b64 v110, v[8:9] offset:384
	ds_store_2addr_b64 v109, v[10:11], v[40:41] offset1:24
	ds_store_b64 v109, v[42:43] offset:384
	;; [unrolled: 2-line block ×3, first 2 shown]
	global_wb scope:SCOPE_SE
	s_wait_dscnt 0x0
	s_barrier_signal -1
	s_barrier_wait -1
	global_inv scope:SCOPE_SE
	s_and_saveexec_b32 s1, s0
	s_cbranch_execz .LBB0_35
; %bb.34:
	ds_load_2addr_b64 v[36:39], v36 offset0:64 offset1:136
	ds_load_2addr_b64 v[0:3], v86 offset1:72
	ds_load_2addr_b64 v[8:11], v86 offset0:144 offset1:216
	ds_load_2addr_b64 v[40:43], v48 offset0:32 offset1:104
	;; [unrolled: 1-line block ×3, first 2 shown]
	ds_load_b64 v[56:57], v86 offset:5760
	s_wait_dscnt 0x5
	v_dual_mov_b32 v44, v36 :: v_dual_mov_b32 v45, v37
.LBB0_35:
	s_wait_alu 0xfffe
	s_or_b32 exec_lo, exec_lo, s1
	s_and_saveexec_b32 s1, s0
	s_cbranch_execz .LBB0_37
; %bb.36:
	s_wait_dscnt 0x0
	v_dual_mul_f32 v25, v29, v3 :: v_dual_mul_f32 v24, v35, v57
	v_dual_mul_f32 v26, v35, v56 :: v_dual_mul_f32 v27, v29, v2
	v_mul_f32_e32 v29, v31, v9
	s_delay_alu instid0(VALU_DEP_3) | instskip(SKIP_1) | instid1(VALU_DEP_4)
	v_dual_fmac_f32 v25, v28, v2 :: v_dual_fmac_f32 v24, v34, v56
	v_mul_f32_e32 v35, v33, v39
	v_fma_f32 v27, v28, v3, -v27
	v_mul_f32_e32 v28, v33, v38
	v_fma_f32 v26, v34, v57, -v26
	v_dual_mul_f32 v36, v17, v11 :: v_dual_mul_f32 v37, v23, v45
	v_mul_f32_e32 v23, v23, v44
	s_delay_alu instid0(VALU_DEP_4) | instskip(SKIP_4) | instid1(VALU_DEP_3)
	v_fma_f32 v28, v32, v39, -v28
	v_fmac_f32_e32 v29, v30, v8
	v_dual_mul_f32 v8, v31, v8 :: v_dual_fmac_f32 v35, v32, v38
	v_dual_add_f32 v33, v26, v27 :: v_dual_fmac_f32 v36, v16, v10
	v_dual_fmac_f32 v37, v22, v44 :: v_dual_mul_f32 v38, v21, v15
	v_fma_f32 v30, v30, v9, -v8
	v_dual_mul_f32 v10, v17, v10 :: v_dual_mul_f32 v17, v19, v41
	s_delay_alu instid0(VALU_DEP_3) | instskip(NEXT) | instid1(VALU_DEP_4)
	v_sub_f32_e32 v39, v36, v37
	v_fmac_f32_e32 v38, v20, v14
	s_delay_alu instid0(VALU_DEP_4) | instskip(SKIP_4) | instid1(VALU_DEP_4)
	v_add_f32_e32 v34, v28, v30
	v_sub_f32_e32 v2, v29, v35
	v_sub_f32_e32 v3, v25, v24
	v_fma_f32 v22, v22, v45, -v23
	v_fma_f32 v16, v16, v11, -v10
	v_dual_fmac_f32 v17, v18, v40 :: v_dual_mul_f32 v32, 0x3e903f40, v2
	s_delay_alu instid0(VALU_DEP_4) | instskip(SKIP_1) | instid1(VALU_DEP_3)
	v_dual_mul_f32 v31, 0xbf7d64f0, v3 :: v_dual_mul_f32 v10, v21, v14
	v_dual_mul_f32 v14, 0x3f68dda4, v39 :: v_dual_add_f32 v51, v37, v36
	v_fmamk_f32 v9, v34, 0xbf75a155, v32
	s_delay_alu instid0(VALU_DEP_3) | instskip(SKIP_3) | instid1(VALU_DEP_4)
	v_fmamk_f32 v8, v33, 0xbe11bafb, v31
	v_sub_f32_e32 v23, v17, v38
	v_mul_f32_e32 v11, v19, v40
	v_dual_add_f32 v19, v22, v16 :: v_dual_mul_f32 v40, v5, v43
	v_add_f32_e32 v8, v1, v8
	v_fma_f32 v20, v20, v15, -v10
	v_mul_f32_e32 v5, v5, v42
	v_sub_f32_e32 v49, v16, v22
	v_fmac_f32_e32 v40, v4, v42
	v_add_f32_e32 v42, v24, v25
	v_mul_f32_e32 v10, 0xbf0a6770, v23
	v_fma_f32 v18, v18, v41, -v11
	v_dual_add_f32 v8, v9, v8 :: v_dual_fmamk_f32 v9, v19, 0x3ed4b147, v14
	v_fma_f32 v31, 0xbe11bafb, v33, -v31
	v_sub_f32_e32 v44, v27, v26
	s_delay_alu instid0(VALU_DEP_4) | instskip(NEXT) | instid1(VALU_DEP_4)
	v_dual_add_f32 v21, v20, v18 :: v_dual_mul_f32 v52, 0x3f68dda4, v49
	v_add_f32_e32 v8, v9, v8
	v_fma_f32 v32, 0xbf75a155, v34, -v32
	v_fma_f32 v14, 0x3ed4b147, v19, -v14
	s_delay_alu instid0(VALU_DEP_4) | instskip(SKIP_2) | instid1(VALU_DEP_3)
	v_fmamk_f32 v9, v21, 0x3f575c64, v10
	v_mul_f32_e32 v41, v7, v13
	v_dual_mul_f32 v7, v7, v12 :: v_dual_mul_f32 v100, 0xbe11bafb, v19
	v_dual_add_f32 v27, v27, v1 :: v_dual_add_f32 v8, v9, v8
	s_delay_alu instid0(VALU_DEP_3)
	v_fmac_f32_e32 v41, v6, v12
	v_mul_f32_e32 v12, 0xbf7d64f0, v44
	v_sub_f32_e32 v46, v30, v28
	v_fma_f32 v47, v6, v13, -v7
	v_fma_f32 v43, v4, v43, -v5
	v_sub_f32_e32 v45, v40, v41
	v_fma_f32 v4, 0xbe11bafb, v42, -v12
	v_dual_add_f32 v48, v35, v29 :: v_dual_mul_f32 v13, 0x3e903f40, v46
	s_delay_alu instid0(VALU_DEP_3) | instskip(SKIP_1) | instid1(VALU_DEP_4)
	v_dual_add_f32 v50, v47, v43 :: v_dual_mul_f32 v15, 0xbf4178ce, v45
	v_dual_sub_f32 v53, v18, v20 :: v_dual_sub_f32 v56, v43, v47
	v_add_f32_e32 v4, v0, v4
	s_delay_alu instid0(VALU_DEP_4) | instskip(NEXT) | instid1(VALU_DEP_4)
	v_fma_f32 v5, 0xbf75a155, v48, -v13
	v_fmamk_f32 v6, v50, 0xbf27a4f4, v15
	s_delay_alu instid0(VALU_DEP_4) | instskip(SKIP_1) | instid1(VALU_DEP_4)
	v_mul_f32_e32 v55, 0xbf0a6770, v53
	v_dual_add_f32 v57, v41, v40 :: v_dual_mul_f32 v80, 0x3f68dda4, v23
	v_add_f32_e32 v4, v5, v4
	s_delay_alu instid0(VALU_DEP_4) | instskip(SKIP_4) | instid1(VALU_DEP_3)
	v_dual_add_f32 v5, v6, v8 :: v_dual_mul_f32 v8, 0x3f0a6770, v2
	v_mul_f32_e32 v6, 0xbe903f40, v3
	v_fma_f32 v7, 0x3ed4b147, v51, -v52
	v_add_f32_e32 v54, v38, v17
	v_dual_mul_f32 v58, 0xbf4178ce, v56 :: v_dual_mul_f32 v59, 0xbf4178ce, v39
	v_dual_fmamk_f32 v11, v34, 0x3f575c64, v8 :: v_dual_add_f32 v4, v7, v4
	v_fmamk_f32 v7, v33, 0xbf75a155, v6
	s_delay_alu instid0(VALU_DEP_4)
	v_fma_f32 v9, 0x3f575c64, v54, -v55
	v_fma_f32 v6, 0xbf75a155, v33, -v6
	v_mul_f32_e32 v79, 0xbe903f40, v44
	v_mul_f32_e32 v81, 0x3f0a6770, v46
	v_add_f32_e32 v7, v1, v7
	v_add_f32_e32 v4, v9, v4
	v_fma_f32 v9, 0xbf27a4f4, v57, -v58
	v_mul_f32_e32 v82, 0xbf7d64f0, v45
	s_delay_alu instid0(VALU_DEP_4) | instskip(NEXT) | instid1(VALU_DEP_3)
	v_dual_add_f32 v6, v1, v6 :: v_dual_add_f32 v7, v11, v7
	v_dual_fmamk_f32 v11, v19, 0xbf27a4f4, v59 :: v_dual_add_f32 v4, v9, v4
	v_fma_f32 v9, 0xbf75a155, v42, -v79
	v_fma_f32 v8, 0x3f575c64, v34, -v8
	;; [unrolled: 1-line block ×3, first 2 shown]
	s_delay_alu instid0(VALU_DEP_4)
	v_add_f32_e32 v7, v11, v7
	v_fmamk_f32 v11, v21, 0x3ed4b147, v80
	v_fmac_f32_e32 v79, 0xbf75a155, v42
	v_add_f32_e32 v6, v8, v6
	v_mul_f32_e32 v84, 0xbf4178ce, v49
	v_fma_f32 v8, 0xbf27a4f4, v19, -v59
	v_add_f32_e32 v7, v11, v7
	v_add_f32_e32 v9, v0, v9
	v_fmamk_f32 v11, v50, 0xbe11bafb, v82
	v_fmac_f32_e32 v55, 0x3f575c64, v54
	v_add_f32_e32 v8, v8, v6
	v_dual_mul_f32 v88, 0x3f68dda4, v53 :: v_dual_add_f32 v31, v1, v31
	s_delay_alu instid0(VALU_DEP_4) | instskip(SKIP_2) | instid1(VALU_DEP_4)
	v_add_f32_e32 v7, v11, v7
	v_add_f32_e32 v9, v83, v9
	v_fma_f32 v83, 0xbf27a4f4, v51, -v84
	v_fma_f32 v11, 0x3ed4b147, v54, -v88
	v_dual_fmac_f32 v88, 0x3ed4b147, v54 :: v_dual_add_f32 v59, v0, v79
	v_fma_f32 v79, 0x3ed4b147, v21, -v80
	v_mul_f32_e32 v80, 0xbf27a4f4, v33
	v_add_f32_e32 v9, v83, v9
	v_mul_f32_e32 v83, 0xbf7d64f0, v56
	v_add_f32_e32 v31, v32, v31
	v_fmac_f32_e32 v84, 0xbf27a4f4, v51
	v_add_f32_e32 v8, v79, v8
	v_add_f32_e32 v9, v11, v9
	v_fma_f32 v11, 0xbe11bafb, v57, -v83
	v_dual_fmac_f32 v83, 0xbe11bafb, v57 :: v_dual_fmac_f32 v12, 0xbe11bafb, v42
	v_dual_add_f32 v14, v14, v31 :: v_dual_mul_f32 v91, 0xbf0a6770, v49
	s_delay_alu instid0(VALU_DEP_3) | instskip(SKIP_1) | instid1(VALU_DEP_4)
	v_dual_add_f32 v6, v11, v9 :: v_dual_fmac_f32 v81, 0x3f575c64, v48
	v_fma_f32 v11, 0xbe11bafb, v50, -v82
	v_add_f32_e32 v12, v0, v12
	v_mul_f32_e32 v82, 0xbf4178ce, v44
	v_mul_f32_e32 v89, 0x3ed4b147, v50
	v_add_f32_e32 v9, v81, v59
	v_fmamk_f32 v59, v3, 0x3f4178ce, v80
	v_fmac_f32_e32 v13, 0xbf75a155, v48
	v_fma_f32 v31, 0x3f575c64, v21, -v10
	s_delay_alu instid0(VALU_DEP_4) | instskip(NEXT) | instid1(VALU_DEP_4)
	v_dual_fmac_f32 v52, 0x3ed4b147, v51 :: v_dual_add_f32 v81, v84, v9
	v_dual_add_f32 v9, v11, v8 :: v_dual_add_f32 v8, v1, v59
	s_delay_alu instid0(VALU_DEP_4) | instskip(NEXT) | instid1(VALU_DEP_4)
	v_dual_mul_f32 v59, 0x3f575c64, v19 :: v_dual_add_f32 v12, v13, v12
	v_dual_add_f32 v13, v31, v14 :: v_dual_mul_f32 v92, 0xbe903f40, v53
	v_dual_mul_f32 v31, 0xbf27a4f4, v34 :: v_dual_fmac_f32 v58, 0xbf27a4f4, v57
	s_delay_alu instid0(VALU_DEP_3)
	v_dual_fmamk_f32 v84, v39, 0x3f0a6770, v59 :: v_dual_add_f32 v81, v88, v81
	v_mul_f32_e32 v79, 0xbe11bafb, v34
	v_mul_f32_e32 v88, 0xbf75a155, v21
	v_add_f32_e32 v12, v52, v12
	v_fma_f32 v15, 0xbf27a4f4, v50, -v15
	v_mul_f32_e32 v52, 0xbf75a155, v19
	v_fmamk_f32 v11, v2, 0xbf7d64f0, v79
	v_dual_add_f32 v27, v30, v27 :: v_dual_mul_f32 v30, 0xbf0a6770, v44
	v_add_f32_e32 v12, v55, v12
	v_mul_f32_e32 v55, 0xbf68dda4, v44
	s_delay_alu instid0(VALU_DEP_4) | instskip(NEXT) | instid1(VALU_DEP_4)
	v_add_f32_e32 v11, v11, v8
	v_dual_mul_f32 v93, 0xbf4178ce, v46 :: v_dual_add_f32 v16, v16, v27
	v_mul_f32_e32 v98, 0x3f0a6770, v56
	v_mul_f32_e32 v95, 0x3f575c64, v50
	s_delay_alu instid0(VALU_DEP_4) | instskip(SKIP_3) | instid1(VALU_DEP_4)
	v_dual_add_f32 v11, v84, v11 :: v_dual_fmamk_f32 v84, v23, 0x3e903f40, v88
	v_dual_add_f32 v8, v83, v81 :: v_dual_fmamk_f32 v81, v42, 0xbf27a4f4, v82
	v_mul_f32_e32 v83, 0x3f7d64f0, v46
	v_add_f32_e32 v13, v15, v13
	v_dual_add_f32 v11, v84, v11 :: v_dual_fmamk_f32 v84, v45, 0xbf68dda4, v89
	s_delay_alu instid0(VALU_DEP_4) | instskip(NEXT) | instid1(VALU_DEP_4)
	v_add_f32_e32 v81, v0, v81
	v_fmamk_f32 v90, v48, 0xbe11bafb, v83
	v_dual_fmamk_f32 v15, v39, 0xbe903f40, v52 :: v_dual_add_f32 v12, v58, v12
	s_delay_alu instid0(VALU_DEP_4) | instskip(NEXT) | instid1(VALU_DEP_3)
	v_dual_add_f32 v11, v84, v11 :: v_dual_fmamk_f32 v84, v54, 0xbf75a155, v92
	v_dual_add_f32 v81, v90, v81 :: v_dual_fmamk_f32 v90, v51, 0x3f575c64, v91
	v_dual_mul_f32 v27, 0xbf68dda4, v46 :: v_dual_add_f32 v16, v18, v16
	v_mul_f32_e32 v44, 0xbf27a4f4, v21
	s_delay_alu instid0(VALU_DEP_3) | instskip(SKIP_1) | instid1(VALU_DEP_4)
	v_dual_fmac_f32 v80, 0xbf4178ce, v3 :: v_dual_add_f32 v81, v90, v81
	v_mul_f32_e32 v90, 0x3f68dda4, v56
	v_add_f32_e32 v16, v43, v16
	s_delay_alu instid0(VALU_DEP_4)
	v_fmamk_f32 v46, v23, 0x3f4178ce, v44
	v_fmac_f32_e32 v52, 0x3e903f40, v39
	v_add_f32_e32 v32, v84, v81
	v_mul_f32_e32 v84, 0x3ed4b147, v33
	v_dual_mul_f32 v33, 0x3f575c64, v33 :: v_dual_add_f32 v16, v47, v16
	v_fmac_f32_e32 v88, 0xbe903f40, v23
	v_fmac_f32_e32 v44, 0xbf4178ce, v23
	s_delay_alu instid0(VALU_DEP_4) | instskip(SKIP_2) | instid1(VALU_DEP_3)
	v_fmamk_f32 v14, v3, 0x3f68dda4, v84
	v_fmac_f32_e32 v84, 0xbf68dda4, v3
	v_dual_add_f32 v16, v20, v16 :: v_dual_mul_f32 v43, 0xbf75a155, v50
	v_add_f32_e32 v14, v1, v14
	s_delay_alu instid0(VALU_DEP_2) | instskip(NEXT) | instid1(VALU_DEP_1)
	v_dual_fmamk_f32 v81, v57, 0x3ed4b147, v90 :: v_dual_add_f32 v16, v22, v16
	v_add_f32_e32 v10, v81, v32
	v_fmamk_f32 v32, v2, 0x3f4178ce, v31
	s_delay_alu instid0(VALU_DEP_1)
	v_add_f32_e32 v14, v32, v14
	v_mul_f32_e32 v32, 0xbe11bafb, v21
	v_add_f32_e32 v21, v0, v25
	v_fmamk_f32 v97, v3, 0x3f0a6770, v33
	v_fmac_f32_e32 v79, 0x3f7d64f0, v2
	v_add_f32_e32 v14, v15, v14
	v_fmamk_f32 v15, v23, 0xbf7d64f0, v32
	v_dual_fmamk_f32 v81, v42, 0x3ed4b147, v55 :: v_dual_add_f32 v18, v29, v21
	v_add_f32_e32 v97, v1, v97
	s_delay_alu instid0(VALU_DEP_3) | instskip(NEXT) | instid1(VALU_DEP_3)
	v_dual_mul_f32 v29, 0xbf7d64f0, v49 :: v_dual_add_f32 v14, v15, v14
	v_add_f32_e32 v58, v0, v81
	v_fmamk_f32 v81, v48, 0xbf27a4f4, v93
	v_mul_f32_e32 v94, 0x3e903f40, v49
	v_add_f32_e32 v18, v36, v18
	v_mul_f32_e32 v36, 0xbf4178ce, v53
	s_delay_alu instid0(VALU_DEP_4) | instskip(SKIP_1) | instid1(VALU_DEP_4)
	v_dual_fmac_f32 v32, 0x3f7d64f0, v23 :: v_dual_add_f32 v15, v81, v58
	v_mul_f32_e32 v81, 0x3f7d64f0, v53
	v_dual_add_f32 v17, v17, v18 :: v_dual_fmamk_f32 v58, v51, 0xbf75a155, v94
	v_mul_f32_e32 v34, 0x3ed4b147, v34
	s_delay_alu instid0(VALU_DEP_2) | instskip(SKIP_1) | instid1(VALU_DEP_4)
	v_dual_fmamk_f32 v20, v54, 0xbf27a4f4, v36 :: v_dual_add_f32 v17, v40, v17
	v_fmamk_f32 v25, v42, 0x3f575c64, v30
	v_add_f32_e32 v15, v58, v15
	s_delay_alu instid0(VALU_DEP_4)
	v_fmamk_f32 v99, v2, 0x3f68dda4, v34
	v_fmamk_f32 v58, v54, 0xbe11bafb, v81
	v_add_f32_e32 v22, v41, v17
	v_add_f32_e32 v21, v0, v25
	v_fmamk_f32 v25, v48, 0x3ed4b147, v27
	v_add_f32_e32 v97, v99, v97
	v_dual_add_f32 v19, v58, v15 :: v_dual_fmamk_f32 v58, v57, 0x3f575c64, v98
	v_fmamk_f32 v96, v45, 0xbf0a6770, v95
	s_delay_alu instid0(VALU_DEP_4) | instskip(SKIP_4) | instid1(VALU_DEP_4)
	v_add_f32_e32 v21, v25, v21
	v_fmamk_f32 v25, v51, 0xbe11bafb, v29
	v_fmamk_f32 v99, v39, 0x3f7d64f0, v100
	v_fmac_f32_e32 v34, 0xbf68dda4, v2
	v_dual_add_f32 v15, v96, v14 :: v_dual_add_f32 v14, v58, v19
	v_add_f32_e32 v18, v25, v21
	s_delay_alu instid0(VALU_DEP_4) | instskip(SKIP_3) | instid1(VALU_DEP_4)
	v_add_f32_e32 v19, v99, v97
	v_mul_f32_e32 v25, 0xbe903f40, v56
	v_fmamk_f32 v21, v45, 0x3e903f40, v43
	v_fmac_f32_e32 v100, 0xbf7d64f0, v39
	v_dual_add_f32 v18, v20, v18 :: v_dual_add_f32 v19, v46, v19
	s_delay_alu instid0(VALU_DEP_4) | instskip(NEXT) | instid1(VALU_DEP_2)
	v_fmamk_f32 v20, v57, 0xbf75a155, v25
	v_add_f32_e32 v17, v21, v19
	v_add_f32_e32 v19, v28, v16
	s_delay_alu instid0(VALU_DEP_3) | instskip(SKIP_4) | instid1(VALU_DEP_4)
	v_add_f32_e32 v16, v20, v18
	v_fma_f32 v18, 0xbf27a4f4, v42, -v82
	v_add_f32_e32 v21, v38, v22
	v_fma_f32 v22, 0xbe11bafb, v48, -v83
	v_fma_f32 v28, 0x3ed4b147, v57, -v90
	v_add_f32_e32 v18, v0, v18
	s_delay_alu instid0(VALU_DEP_4) | instskip(SKIP_1) | instid1(VALU_DEP_3)
	v_add_f32_e32 v20, v37, v21
	v_fma_f32 v25, 0xbf75a155, v57, -v25
	v_add_f32_e32 v18, v22, v18
	v_fma_f32 v22, 0x3f575c64, v51, -v91
	s_delay_alu instid0(VALU_DEP_4) | instskip(NEXT) | instid1(VALU_DEP_2)
	v_dual_add_f32 v20, v35, v20 :: v_dual_fmac_f32 v59, 0xbf0a6770, v39
	v_add_f32_e32 v18, v22, v18
	v_fma_f32 v22, 0xbf75a155, v54, -v92
	s_delay_alu instid0(VALU_DEP_1) | instskip(NEXT) | instid1(VALU_DEP_4)
	v_dual_add_f32 v21, v1, v80 :: v_dual_add_f32 v22, v22, v18
	v_dual_fmac_f32 v89, 0x3f68dda4, v45 :: v_dual_add_f32 v18, v24, v20
	s_delay_alu instid0(VALU_DEP_2)
	v_add_f32_e32 v20, v28, v22
	v_fma_f32 v22, 0x3ed4b147, v42, -v55
	v_fmac_f32_e32 v33, 0xbf0a6770, v3
	v_fma_f32 v3, 0x3f575c64, v42, -v30
	v_fmac_f32_e32 v31, 0xbf4178ce, v2
	v_fma_f32 v2, 0x3ed4b147, v48, -v27
	v_add_f32_e32 v22, v0, v22
	s_delay_alu instid0(VALU_DEP_4) | instskip(SKIP_2) | instid1(VALU_DEP_3)
	v_add_f32_e32 v0, v0, v3
	v_dual_add_f32 v19, v26, v19 :: v_dual_add_f32 v26, v1, v84
	v_fmac_f32_e32 v95, 0x3f0a6770, v45
	v_dual_add_f32 v1, v1, v33 :: v_dual_add_f32 v0, v2, v0
	v_fma_f32 v2, 0xbe11bafb, v51, -v29
	s_delay_alu instid0(VALU_DEP_4)
	v_add_f32_e32 v26, v31, v26
	v_add_f32_e32 v21, v79, v21
	ds_store_b64 v86, v[18:19]
	v_add_f32_e32 v0, v2, v0
	v_dual_add_f32 v26, v52, v26 :: v_dual_add_f32 v21, v59, v21
	v_fma_f32 v2, 0xbf27a4f4, v54, -v36
	s_delay_alu instid0(VALU_DEP_2) | instskip(NEXT) | instid1(VALU_DEP_2)
	v_dual_fmac_f32 v43, 0xbe903f40, v45 :: v_dual_add_f32 v24, v32, v26
	v_dual_add_f32 v21, v88, v21 :: v_dual_add_f32 v2, v2, v0
	v_add_f32_e32 v1, v34, v1
	v_fma_f32 v26, 0xbf27a4f4, v48, -v93
	s_delay_alu instid0(VALU_DEP_3) | instskip(NEXT) | instid1(VALU_DEP_3)
	v_add_f32_e32 v21, v89, v21
	v_dual_add_f32 v2, v25, v2 :: v_dual_add_f32 v1, v100, v1
	s_delay_alu instid0(VALU_DEP_1) | instskip(SKIP_4) | instid1(VALU_DEP_3)
	v_add_f32_e32 v23, v44, v1
	v_add_f32_e32 v1, v95, v24
	v_lshl_add_u32 v24, v85, 3, v87
	v_add_f32_e32 v3, v26, v22
	v_fma_f32 v22, 0xbf75a155, v51, -v94
	v_add_nc_u32_e32 v18, 0x400, v24
	v_add_nc_u32_e32 v19, 0x800, v24
	s_delay_alu instid0(VALU_DEP_3) | instskip(SKIP_1) | instid1(VALU_DEP_1)
	v_add_f32_e32 v3, v22, v3
	v_fma_f32 v22, 0xbe11bafb, v54, -v81
	v_add_f32_e32 v3, v22, v3
	v_fma_f32 v22, 0x3f575c64, v57, -v98
	s_delay_alu instid0(VALU_DEP_1)
	v_add_f32_e32 v0, v22, v3
	v_dual_add_f32 v3, v43, v23 :: v_dual_add_nc_u32 v22, 0xc00, v24
	v_add_nc_u32_e32 v23, 0x1000, v24
	ds_store_2addr_b64 v24, v[16:17], v[14:15] offset0:72 offset1:144
	ds_store_2addr_b64 v18, v[12:13], v[10:11] offset0:88 offset1:160
	;; [unrolled: 1-line block ×5, first 2 shown]
.LBB0_37:
	s_wait_alu 0xfffe
	s_or_b32 exec_lo, exec_lo, s1
	global_wb scope:SCOPE_SE
	s_wait_dscnt 0x0
	s_barrier_signal -1
	s_barrier_wait -1
	global_inv scope:SCOPE_SE
	ds_load_2addr_b64 v[0:3], v86 offset1:88
	v_add_nc_u32_e32 v4, 0x800, v86
	v_add_nc_u32_e32 v12, 0x1000, v86
	v_mad_co_u64_u32 v[32:33], null, s6, v60, 0
	v_mad_co_u64_u32 v[34:35], null, s4, v85, 0
	s_mov_b32 s2, 0xa052bf5b
	s_mov_b32 s3, 0x3f54afd6
	s_mul_u64 s[0:1], s[4:5], 0x18c
	s_movk_i32 s10, 0xfecc
	s_mov_b32 s11, -1
	s_delay_alu instid0(VALU_DEP_1)
	v_mad_co_u64_u32 v[36:37], null, s7, v60, v[33:34]
	s_wait_alu 0xfffe
	s_lshl_b64 s[6:7], s[0:1], 3
	s_wait_dscnt 0x0
	v_mul_f32_e32 v17, v66, v0
	ds_load_2addr_b64 v[4:7], v4 offset0:140 offset1:228
	v_add_nc_u32_e32 v8, 0x400, v86
	v_dual_mul_f32 v16, v66, v1 :: v_dual_mul_f32 v19, v68, v2
	v_mad_co_u64_u32 v[37:38], null, s5, v85, v[35:36]
	v_fma_f32 v17, v65, v1, -v17
	s_delay_alu instid0(VALU_DEP_3) | instskip(NEXT) | instid1(VALU_DEP_4)
	v_fmac_f32_e32 v16, v65, v0
	v_fma_f32 v19, v67, v3, -v19
	s_mul_u64 s[4:5], s[4:5], s[10:11]
	v_mov_b32_e32 v33, v36
	s_wait_alu 0xfffe
	s_lshl_b64 s[4:5], s[4:5], 3
	v_mov_b32_e32 v35, v37
	s_delay_alu instid0(VALU_DEP_2) | instskip(NEXT) | instid1(VALU_DEP_2)
	v_lshlrev_b64_e32 v[32:33], 3, v[32:33]
	v_lshlrev_b64_e32 v[34:35], 3, v[34:35]
	s_wait_dscnt 0x0
	v_mul_f32_e32 v23, v72, v6
	v_mul_f32_e32 v21, v74, v4
	ds_load_2addr_b64 v[8:11], v8 offset0:48 offset1:136
	ds_load_2addr_b64 v[12:15], v12 offset0:60 offset1:148
	v_mul_f32_e32 v18, v68, v3
	v_mul_f32_e32 v20, v74, v5
	;; [unrolled: 1-line block ×3, first 2 shown]
	v_fma_f32 v21, v73, v5, -v21
	v_cvt_f64_f32_e32 v[0:1], v16
	v_fma_f32 v23, v71, v7, -v23
	v_add_co_u32 v32, s0, s8, v32
	v_fmac_f32_e32 v22, v71, v6
	s_wait_alu 0xf1ff
	v_add_co_ci_u32_e64 v33, s0, s9, v33, s0
	s_delay_alu instid0(VALU_DEP_3) | instskip(SKIP_1) | instid1(VALU_DEP_2)
	v_add_co_u32 v32, s0, v32, v34
	s_wait_alu 0xf1ff
	v_add_co_ci_u32_e64 v33, s0, v33, v35, s0
	s_wait_dscnt 0x1
	v_mul_f32_e32 v29, v76, v10
	s_wait_dscnt 0x0
	v_mul_f32_e32 v26, v64, v13
	v_dual_fmac_f32 v20, v73, v4 :: v_dual_mul_f32 v31, v78, v14
	v_fmac_f32_e32 v18, v67, v2
	v_mul_f32_e32 v24, v70, v9
	v_mul_f32_e32 v25, v70, v8
	v_fmac_f32_e32 v26, v63, v12
	v_mul_f32_e32 v12, v64, v12
	v_cvt_f64_f32_e32 v[2:3], v17
	v_mul_f32_e32 v28, v76, v11
	v_cvt_f64_f32_e32 v[4:5], v18
	v_cvt_f64_f32_e32 v[16:17], v19
	;; [unrolled: 1-line block ×4, first 2 shown]
	v_mul_f32_e32 v30, v78, v15
	v_fmac_f32_e32 v24, v69, v8
	v_fma_f32 v25, v69, v9, -v25
	v_fma_f32 v12, v63, v13, -v12
	;; [unrolled: 1-line block ×3, first 2 shown]
	v_fmac_f32_e32 v28, v75, v10
	v_fmac_f32_e32 v30, v77, v14
	v_fma_f32 v31, v77, v15, -v31
	v_cvt_f64_f32_e32 v[8:9], v22
	v_cvt_f64_f32_e32 v[20:21], v23
	;; [unrolled: 1-line block ×10, first 2 shown]
	v_mul_f64_e32 v[0:1], s[2:3], v[0:1]
	v_mul_f64_e32 v[2:3], s[2:3], v[2:3]
	;; [unrolled: 1-line block ×16, first 2 shown]
	v_cvt_f32_f64_e32 v0, v[0:1]
	v_cvt_f32_f64_e32 v1, v[2:3]
	;; [unrolled: 1-line block ×12, first 2 shown]
	v_add_co_u32 v14, s0, v32, s6
	v_cvt_f32_f64_e32 v16, v[26:27]
	v_cvt_f32_f64_e32 v10, v[12:13]
	s_wait_alu 0xf1ff
	v_add_co_ci_u32_e64 v15, s0, s7, v33, s0
	v_cvt_f32_f64_e32 v12, v[28:29]
	v_cvt_f32_f64_e32 v13, v[30:31]
	s_wait_alu 0xfffe
	v_add_co_u32 v18, s0, v14, s4
	s_wait_alu 0xf1ff
	v_add_co_ci_u32_e64 v19, s0, s5, v15, s0
	s_clause 0x2
	global_store_b64 v[32:33], v[0:1], off
	global_store_b64 v[14:15], v[4:5], off
	;; [unrolled: 1-line block ×3, first 2 shown]
	v_add_co_u32 v20, s0, v18, s6
	s_wait_alu 0xf1ff
	v_add_co_ci_u32_e64 v21, s0, s7, v19, s0
	s_delay_alu instid0(VALU_DEP_2) | instskip(SKIP_1) | instid1(VALU_DEP_2)
	v_add_co_u32 v22, s0, v20, s4
	s_wait_alu 0xf1ff
	v_add_co_ci_u32_e64 v23, s0, s5, v21, s0
	s_delay_alu instid0(VALU_DEP_2) | instskip(SKIP_1) | instid1(VALU_DEP_2)
	;; [unrolled: 4-line block ×4, first 2 shown]
	v_add_co_u32 v0, s0, v26, s6
	s_wait_alu 0xf1ff
	v_add_co_ci_u32_e64 v1, s0, s7, v27, s0
	s_clause 0x1
	global_store_b64 v[20:21], v[6:7], off
	global_store_b64 v[22:23], v[8:9], off
	;; [unrolled: 1-line block ×5, first 2 shown]
	s_and_b32 exec_lo, exec_lo, vcc_lo
	s_cbranch_execz .LBB0_39
; %bb.38:
	s_clause 0x1
	global_load_b64 v[2:3], v[61:62], off offset:2816
	global_load_b64 v[4:5], v[61:62], off offset:5984
	ds_load_b64 v[6:7], v86 offset:2816
	ds_load_b64 v[8:9], v86 offset:5984
	v_add_co_u32 v0, vcc_lo, v0, s4
	s_wait_alu 0xfffd
	v_add_co_ci_u32_e32 v1, vcc_lo, s5, v1, vcc_lo
	s_wait_loadcnt_dscnt 0x0
	v_dual_mul_f32 v10, v7, v3 :: v_dual_mul_f32 v11, v9, v5
	v_mul_f32_e32 v3, v6, v3
	s_delay_alu instid0(VALU_DEP_2) | instskip(NEXT) | instid1(VALU_DEP_3)
	v_dual_mul_f32 v5, v8, v5 :: v_dual_fmac_f32 v10, v6, v2
	v_fmac_f32_e32 v11, v8, v4
	s_delay_alu instid0(VALU_DEP_3) | instskip(NEXT) | instid1(VALU_DEP_3)
	v_fma_f32 v6, v2, v7, -v3
	v_fma_f32 v8, v4, v9, -v5
	s_delay_alu instid0(VALU_DEP_4) | instskip(NEXT) | instid1(VALU_DEP_3)
	v_cvt_f64_f32_e32 v[2:3], v10
	v_cvt_f64_f32_e32 v[4:5], v6
	;; [unrolled: 1-line block ×3, first 2 shown]
	s_delay_alu instid0(VALU_DEP_4) | instskip(NEXT) | instid1(VALU_DEP_4)
	v_cvt_f64_f32_e32 v[8:9], v8
	v_mul_f64_e32 v[2:3], s[2:3], v[2:3]
	s_delay_alu instid0(VALU_DEP_4) | instskip(NEXT) | instid1(VALU_DEP_4)
	v_mul_f64_e32 v[4:5], s[2:3], v[4:5]
	v_mul_f64_e32 v[6:7], s[2:3], v[6:7]
	s_delay_alu instid0(VALU_DEP_4) | instskip(NEXT) | instid1(VALU_DEP_4)
	v_mul_f64_e32 v[8:9], s[2:3], v[8:9]
	v_cvt_f32_f64_e32 v2, v[2:3]
	s_delay_alu instid0(VALU_DEP_4) | instskip(NEXT) | instid1(VALU_DEP_4)
	v_cvt_f32_f64_e32 v3, v[4:5]
	v_cvt_f32_f64_e32 v4, v[6:7]
	s_delay_alu instid0(VALU_DEP_4)
	v_cvt_f32_f64_e32 v5, v[8:9]
	v_add_co_u32 v6, vcc_lo, v0, s6
	s_wait_alu 0xfffd
	v_add_co_ci_u32_e32 v7, vcc_lo, s7, v1, vcc_lo
	global_store_b64 v[0:1], v[2:3], off
	global_store_b64 v[6:7], v[4:5], off
.LBB0_39:
	s_nop 0
	s_sendmsg sendmsg(MSG_DEALLOC_VGPRS)
	s_endpgm
	.section	.rodata,"a",@progbits
	.p2align	6, 0x0
	.amdhsa_kernel bluestein_single_back_len792_dim1_sp_op_CI_CI
		.amdhsa_group_segment_fixed_size 12672
		.amdhsa_private_segment_fixed_size 0
		.amdhsa_kernarg_size 104
		.amdhsa_user_sgpr_count 2
		.amdhsa_user_sgpr_dispatch_ptr 0
		.amdhsa_user_sgpr_queue_ptr 0
		.amdhsa_user_sgpr_kernarg_segment_ptr 1
		.amdhsa_user_sgpr_dispatch_id 0
		.amdhsa_user_sgpr_private_segment_size 0
		.amdhsa_wavefront_size32 1
		.amdhsa_uses_dynamic_stack 0
		.amdhsa_enable_private_segment 0
		.amdhsa_system_sgpr_workgroup_id_x 1
		.amdhsa_system_sgpr_workgroup_id_y 0
		.amdhsa_system_sgpr_workgroup_id_z 0
		.amdhsa_system_sgpr_workgroup_info 0
		.amdhsa_system_vgpr_workitem_id 0
		.amdhsa_next_free_vgpr 205
		.amdhsa_next_free_sgpr 18
		.amdhsa_reserve_vcc 1
		.amdhsa_float_round_mode_32 0
		.amdhsa_float_round_mode_16_64 0
		.amdhsa_float_denorm_mode_32 3
		.amdhsa_float_denorm_mode_16_64 3
		.amdhsa_fp16_overflow 0
		.amdhsa_workgroup_processor_mode 1
		.amdhsa_memory_ordered 1
		.amdhsa_forward_progress 0
		.amdhsa_round_robin_scheduling 0
		.amdhsa_exception_fp_ieee_invalid_op 0
		.amdhsa_exception_fp_denorm_src 0
		.amdhsa_exception_fp_ieee_div_zero 0
		.amdhsa_exception_fp_ieee_overflow 0
		.amdhsa_exception_fp_ieee_underflow 0
		.amdhsa_exception_fp_ieee_inexact 0
		.amdhsa_exception_int_div_zero 0
	.end_amdhsa_kernel
	.text
.Lfunc_end0:
	.size	bluestein_single_back_len792_dim1_sp_op_CI_CI, .Lfunc_end0-bluestein_single_back_len792_dim1_sp_op_CI_CI
                                        ; -- End function
	.section	.AMDGPU.csdata,"",@progbits
; Kernel info:
; codeLenInByte = 13440
; NumSgprs: 20
; NumVgprs: 205
; ScratchSize: 0
; MemoryBound: 0
; FloatMode: 240
; IeeeMode: 1
; LDSByteSize: 12672 bytes/workgroup (compile time only)
; SGPRBlocks: 2
; VGPRBlocks: 25
; NumSGPRsForWavesPerEU: 20
; NumVGPRsForWavesPerEU: 205
; Occupancy: 7
; WaveLimiterHint : 1
; COMPUTE_PGM_RSRC2:SCRATCH_EN: 0
; COMPUTE_PGM_RSRC2:USER_SGPR: 2
; COMPUTE_PGM_RSRC2:TRAP_HANDLER: 0
; COMPUTE_PGM_RSRC2:TGID_X_EN: 1
; COMPUTE_PGM_RSRC2:TGID_Y_EN: 0
; COMPUTE_PGM_RSRC2:TGID_Z_EN: 0
; COMPUTE_PGM_RSRC2:TIDIG_COMP_CNT: 0
	.text
	.p2alignl 7, 3214868480
	.fill 96, 4, 3214868480
	.type	__hip_cuid_bc2e16a87fe10763,@object ; @__hip_cuid_bc2e16a87fe10763
	.section	.bss,"aw",@nobits
	.globl	__hip_cuid_bc2e16a87fe10763
__hip_cuid_bc2e16a87fe10763:
	.byte	0                               ; 0x0
	.size	__hip_cuid_bc2e16a87fe10763, 1

	.ident	"AMD clang version 19.0.0git (https://github.com/RadeonOpenCompute/llvm-project roc-6.4.0 25133 c7fe45cf4b819c5991fe208aaa96edf142730f1d)"
	.section	".note.GNU-stack","",@progbits
	.addrsig
	.addrsig_sym __hip_cuid_bc2e16a87fe10763
	.amdgpu_metadata
---
amdhsa.kernels:
  - .args:
      - .actual_access:  read_only
        .address_space:  global
        .offset:         0
        .size:           8
        .value_kind:     global_buffer
      - .actual_access:  read_only
        .address_space:  global
        .offset:         8
        .size:           8
        .value_kind:     global_buffer
      - .actual_access:  read_only
        .address_space:  global
        .offset:         16
        .size:           8
        .value_kind:     global_buffer
      - .actual_access:  read_only
        .address_space:  global
        .offset:         24
        .size:           8
        .value_kind:     global_buffer
      - .actual_access:  read_only
        .address_space:  global
        .offset:         32
        .size:           8
        .value_kind:     global_buffer
      - .offset:         40
        .size:           8
        .value_kind:     by_value
      - .address_space:  global
        .offset:         48
        .size:           8
        .value_kind:     global_buffer
      - .address_space:  global
        .offset:         56
        .size:           8
        .value_kind:     global_buffer
      - .address_space:  global
        .offset:         64
        .size:           8
        .value_kind:     global_buffer
      - .address_space:  global
        .offset:         72
        .size:           8
        .value_kind:     global_buffer
      - .offset:         80
        .size:           4
        .value_kind:     by_value
      - .address_space:  global
        .offset:         88
        .size:           8
        .value_kind:     global_buffer
      - .address_space:  global
        .offset:         96
        .size:           8
        .value_kind:     global_buffer
    .group_segment_fixed_size: 12672
    .kernarg_segment_align: 8
    .kernarg_segment_size: 104
    .language:       OpenCL C
    .language_version:
      - 2
      - 0
    .max_flat_workgroup_size: 176
    .name:           bluestein_single_back_len792_dim1_sp_op_CI_CI
    .private_segment_fixed_size: 0
    .sgpr_count:     20
    .sgpr_spill_count: 0
    .symbol:         bluestein_single_back_len792_dim1_sp_op_CI_CI.kd
    .uniform_work_group_size: 1
    .uses_dynamic_stack: false
    .vgpr_count:     205
    .vgpr_spill_count: 0
    .wavefront_size: 32
    .workgroup_processor_mode: 1
amdhsa.target:   amdgcn-amd-amdhsa--gfx1201
amdhsa.version:
  - 1
  - 2
...

	.end_amdgpu_metadata
